;; amdgpu-corpus repo=ROCm/rocFFT kind=compiled arch=gfx1100 opt=O3
	.text
	.amdgcn_target "amdgcn-amd-amdhsa--gfx1100"
	.amdhsa_code_object_version 6
	.protected	bluestein_single_back_len910_dim1_dp_op_CI_CI ; -- Begin function bluestein_single_back_len910_dim1_dp_op_CI_CI
	.globl	bluestein_single_back_len910_dim1_dp_op_CI_CI
	.p2align	8
	.type	bluestein_single_back_len910_dim1_dp_op_CI_CI,@function
bluestein_single_back_len910_dim1_dp_op_CI_CI: ; @bluestein_single_back_len910_dim1_dp_op_CI_CI
; %bb.0:
	s_load_b128 s[4:7], s[0:1], 0x28
	v_mul_u32_u24_e32 v1, 0x2d1, v0
	v_mov_b32_e32 v255, 0
	s_mov_b32 s2, exec_lo
	s_delay_alu instid0(VALU_DEP_2) | instskip(NEXT) | instid1(VALU_DEP_1)
	v_lshrrev_b32_e32 v1, 16, v1
	v_lshl_add_u32 v254, s15, 1, v1
	s_waitcnt lgkmcnt(0)
	s_delay_alu instid0(VALU_DEP_1)
	v_cmpx_gt_u64_e64 s[4:5], v[254:255]
	s_cbranch_execz .LBB0_23
; %bb.1:
	v_mul_lo_u16 v2, 0x5b, v1
	s_clause 0x1
	s_load_b64 s[14:15], s[0:1], 0x0
	s_load_b64 s[12:13], s[0:1], 0x38
	v_and_b32_e32 v1, 1, v1
	v_sub_nc_u16 v0, v0, v2
	s_delay_alu instid0(VALU_DEP_2) | instskip(NEXT) | instid1(VALU_DEP_2)
	v_cmp_eq_u32_e32 vcc_lo, 1, v1
	v_and_b32_e32 v252, 0xffff, v0
	v_cndmask_b32_e64 v185, 0, 0x38e, vcc_lo
	v_cmp_gt_u16_e32 vcc_lo, 0x46, v0
	s_delay_alu instid0(VALU_DEP_3) | instskip(NEXT) | instid1(VALU_DEP_3)
	v_lshlrev_b32_e32 v0, 4, v252
	v_lshlrev_b32_e32 v253, 4, v185
	scratch_store_b32 off, v0, off          ; 4-byte Folded Spill
	s_and_saveexec_b32 s3, vcc_lo
	s_cbranch_execz .LBB0_3
; %bb.2:
	s_load_b64 s[4:5], s[0:1], 0x18
	s_waitcnt lgkmcnt(0)
	s_load_b128 s[8:11], s[4:5], 0x0
	s_waitcnt lgkmcnt(0)
	v_mad_u64_u32 v[24:25], null, s8, v252, 0
	v_mad_u64_u32 v[16:17], null, s10, v254, 0
	s_mul_i32 s4, s9, 0x460
	s_mul_hi_u32 s5, s8, 0x460
	s_delay_alu instid0(SALU_CYCLE_1) | instskip(NEXT) | instid1(VALU_DEP_2)
	s_add_i32 s5, s5, s4
	v_mov_b32_e32 v18, v25
	s_delay_alu instid0(VALU_DEP_1) | instskip(NEXT) | instid1(VALU_DEP_1)
	v_mad_u64_u32 v[19:20], null, s11, v254, v[17:18]
	v_dual_mov_b32 v17, v19 :: v_dual_lshlrev_b32 v132, 4, v252
	s_delay_alu instid0(VALU_DEP_1) | instskip(SKIP_2) | instid1(VALU_DEP_3)
	v_add_co_u32 v22, s2, s14, v132
	v_mad_u64_u32 v[20:21], null, s9, v252, v[18:19]
	v_add_co_ci_u32_e64 v23, null, s15, 0, s2
	v_add_co_u32 v28, s2, 0x1000, v22
	v_lshlrev_b64 v[26:27], 4, v[16:17]
	s_delay_alu instid0(VALU_DEP_3) | instskip(SKIP_4) | instid1(VALU_DEP_1)
	v_add_co_ci_u32_e64 v29, s2, 0, v23, s2
	v_add_co_u32 v40, s2, 0x2000, v22
	v_mov_b32_e32 v25, v20
	v_add_co_ci_u32_e64 v41, s2, 0, v23, s2
	v_add_co_u32 v96, s2, 0x3000, v22
	v_add_co_ci_u32_e64 v97, s2, 0, v23, s2
	s_delay_alu instid0(VALU_DEP_4) | instskip(SKIP_1) | instid1(VALU_DEP_1)
	v_lshlrev_b64 v[24:25], 4, v[24:25]
	v_add_co_u32 v26, s2, s6, v26
	v_add_co_ci_u32_e64 v27, s2, s7, v27, s2
	s_mul_i32 s6, s8, 0x460
	s_delay_alu instid0(VALU_DEP_2) | instskip(NEXT) | instid1(VALU_DEP_1)
	v_add_co_u32 v44, s2, v26, v24
	v_add_co_ci_u32_e64 v45, s2, v27, v25, s2
	s_clause 0x3
	global_load_b128 v[0:3], v132, s[14:15]
	global_load_b128 v[4:7], v132, s[14:15] offset:1120
	global_load_b128 v[8:11], v132, s[14:15] offset:2240
	;; [unrolled: 1-line block ×3, first 2 shown]
	v_add_co_u32 v48, s2, v44, s6
	s_delay_alu instid0(VALU_DEP_1) | instskip(SKIP_4) | instid1(VALU_DEP_1)
	v_add_co_ci_u32_e64 v49, s2, s5, v45, s2
	s_clause 0x1
	global_load_b128 v[16:19], v[28:29], off offset:384
	global_load_b128 v[20:23], v[28:29], off offset:1504
	v_add_co_u32 v52, s2, v48, s6
	v_add_co_ci_u32_e64 v53, s2, s5, v49, s2
	s_clause 0x1
	global_load_b128 v[24:27], v[28:29], off offset:2624
	global_load_b128 v[28:31], v[28:29], off offset:3744
	v_add_co_u32 v56, s2, v52, s6
	s_delay_alu instid0(VALU_DEP_1) | instskip(SKIP_4) | instid1(VALU_DEP_1)
	v_add_co_ci_u32_e64 v57, s2, s5, v53, s2
	s_clause 0x1
	global_load_b128 v[32:35], v[40:41], off offset:768
	global_load_b128 v[36:39], v[40:41], off offset:1888
	v_add_co_u32 v60, s2, v56, s6
	v_add_co_ci_u32_e64 v61, s2, s5, v57, s2
	global_load_b128 v[40:43], v[40:41], off offset:3008
	v_add_co_u32 v64, s2, v60, s6
	s_delay_alu instid0(VALU_DEP_1) | instskip(SKIP_4) | instid1(VALU_DEP_1)
	v_add_co_ci_u32_e64 v65, s2, s5, v61, s2
	s_clause 0x1
	global_load_b128 v[44:47], v[44:45], off
	global_load_b128 v[48:51], v[48:49], off
	v_add_co_u32 v68, s2, v64, s6
	v_add_co_ci_u32_e64 v69, s2, s5, v65, s2
	s_clause 0x1
	global_load_b128 v[52:55], v[52:53], off
	global_load_b128 v[56:59], v[56:57], off
	v_add_co_u32 v72, s2, v68, s6
	s_delay_alu instid0(VALU_DEP_1) | instskip(SKIP_2) | instid1(VALU_DEP_1)
	v_add_co_ci_u32_e64 v73, s2, s5, v69, s2
	global_load_b128 v[60:63], v[60:61], off
	v_add_co_u32 v76, s2, v72, s6
	v_add_co_ci_u32_e64 v77, s2, s5, v73, s2
	global_load_b128 v[64:67], v[64:65], off
	v_add_co_u32 v80, s2, v76, s6
	s_delay_alu instid0(VALU_DEP_1) | instskip(SKIP_2) | instid1(VALU_DEP_1)
	v_add_co_ci_u32_e64 v81, s2, s5, v77, s2
	global_load_b128 v[68:71], v[68:69], off
	v_add_co_u32 v84, s2, v80, s6
	v_add_co_ci_u32_e64 v85, s2, s5, v81, s2
	global_load_b128 v[72:75], v[72:73], off
	v_add_co_u32 v88, s2, v84, s6
	s_delay_alu instid0(VALU_DEP_1) | instskip(SKIP_3) | instid1(VALU_DEP_1)
	v_add_co_ci_u32_e64 v89, s2, s5, v85, s2
	global_load_b128 v[76:79], v[76:77], off
	global_load_b128 v[80:83], v[80:81], off
	v_add_co_u32 v100, s2, v88, s6
	v_add_co_ci_u32_e64 v101, s2, s5, v89, s2
	global_load_b128 v[84:87], v[84:85], off
	global_load_b128 v[88:91], v[88:89], off
	s_clause 0x1
	global_load_b128 v[92:95], v[96:97], off offset:32
	global_load_b128 v[96:99], v[96:97], off offset:1152
	global_load_b128 v[100:103], v[100:101], off
	s_waitcnt vmcnt(14)
	v_mul_f64 v[104:105], v[46:47], v[2:3]
	v_mul_f64 v[2:3], v[44:45], v[2:3]
	s_waitcnt vmcnt(13)
	v_mul_f64 v[106:107], v[50:51], v[6:7]
	v_mul_f64 v[6:7], v[48:49], v[6:7]
	;; [unrolled: 3-line block ×13, first 2 shown]
	v_fma_f64 v[42:43], v[44:45], v[0:1], v[104:105]
	v_fma_f64 v[44:45], v[46:47], v[0:1], -v[2:3]
	v_fma_f64 v[0:1], v[48:49], v[4:5], v[106:107]
	v_fma_f64 v[2:3], v[50:51], v[4:5], -v[6:7]
	;; [unrolled: 2-line block ×13, first 2 shown]
	v_lshl_add_u32 v40, v252, 4, v253
	v_add_nc_u32_e32 v41, v253, v132
	ds_store_b128 v40, v[42:45]
	ds_store_b128 v41, v[0:3] offset:1120
	ds_store_b128 v41, v[4:7] offset:2240
	;; [unrolled: 1-line block ×12, first 2 shown]
.LBB0_3:
	s_or_b32 exec_lo, exec_lo, s3
	s_clause 0x1
	s_load_b64 s[4:5], s[0:1], 0x20
	s_load_b64 s[2:3], s[0:1], 0x8
	s_waitcnt lgkmcnt(0)
	s_waitcnt_vscnt null, 0x0
	s_barrier
	buffer_gl0_inv
                                        ; implicit-def: $vgpr16_vgpr17
                                        ; implicit-def: $vgpr32_vgpr33
                                        ; implicit-def: $vgpr36_vgpr37
                                        ; implicit-def: $vgpr44_vgpr45
                                        ; implicit-def: $vgpr48_vgpr49
                                        ; implicit-def: $vgpr40_vgpr41
                                        ; implicit-def: $vgpr28_vgpr29
                                        ; implicit-def: $vgpr24_vgpr25
                                        ; implicit-def: $vgpr20_vgpr21
                                        ; implicit-def: $vgpr12_vgpr13
                                        ; implicit-def: $vgpr8_vgpr9
                                        ; implicit-def: $vgpr4_vgpr5
                                        ; implicit-def: $vgpr0_vgpr1
	s_and_saveexec_b32 s0, vcc_lo
	s_cbranch_execz .LBB0_5
; %bb.4:
	v_lshlrev_b32_e32 v0, 4, v252
	s_delay_alu instid0(VALU_DEP_1)
	v_lshl_add_u32 v0, v185, 4, v0
	ds_load_b128 v[16:19], v0
	ds_load_b128 v[32:35], v0 offset:1120
	ds_load_b128 v[36:39], v0 offset:2240
	;; [unrolled: 1-line block ×12, first 2 shown]
.LBB0_5:
	s_or_b32 exec_lo, exec_lo, s0
	s_waitcnt lgkmcnt(0)
	v_add_f64 v[173:174], v[34:35], -v[2:3]
	v_add_f64 v[96:97], v[32:33], -v[0:1]
	s_mov_b32 s0, 0x4267c47c
	s_mov_b32 s8, 0x42a4c3d2
	;; [unrolled: 1-line block ×6, first 2 shown]
	v_add_f64 v[94:95], v[32:33], v[0:1]
	v_add_f64 v[171:172], v[34:35], v[2:3]
	v_add_f64 v[154:155], v[38:39], -v[6:7]
	v_add_f64 v[52:53], v[36:37], -v[4:5]
	s_mov_b32 s18, 0xe00740e9
	s_mov_b32 s6, 0x1ea71119
	;; [unrolled: 1-line block ×10, first 2 shown]
	v_add_f64 v[56:57], v[36:37], v[4:5]
	v_add_f64 v[175:176], v[38:39], v[6:7]
	v_add_f64 v[181:182], v[46:47], -v[10:11]
	v_add_f64 v[102:103], v[44:45], -v[8:9]
	s_mov_b32 s22, 0xb2365da1
	s_mov_b32 s28, 0x93053d00
	;; [unrolled: 1-line block ×6, first 2 shown]
	v_add_f64 v[132:133], v[44:45], v[8:9]
	v_add_f64 v[183:184], v[46:47], v[10:11]
	v_add_f64 v[54:55], v[48:49], -v[12:13]
	v_add_f64 v[82:83], v[50:51], -v[14:15]
	s_mov_b32 s36, 0x24c2f84
	s_mov_b32 s37, 0x3fe5384d
	v_mul_f64 v[156:157], v[173:174], s[0:1]
	v_mul_f64 v[158:159], v[96:97], s[0:1]
	;; [unrolled: 1-line block ×6, first 2 shown]
	s_mov_b32 s31, 0x3fddbe06
	s_mov_b32 s30, s0
	v_add_f64 v[150:151], v[50:51], v[14:15]
	v_add_f64 v[146:147], v[42:43], -v[22:23]
	v_mul_f64 v[62:63], v[154:155], s[8:9]
	v_mul_f64 v[64:65], v[52:53], s[8:9]
	;; [unrolled: 1-line block ×6, first 2 shown]
	s_mov_b32 s38, 0xd0032e0c
	s_mov_b32 s39, 0xbfe7f3cc
	;; [unrolled: 1-line block ×6, first 2 shown]
	v_add_f64 v[160:161], v[42:43], v[22:23]
	v_add_f64 v[177:178], v[30:31], -v[26:27]
	v_mul_f64 v[106:107], v[181:182], s[10:11]
	v_mul_f64 v[116:117], v[102:103], s[10:11]
	;; [unrolled: 1-line block ×6, first 2 shown]
	v_mul_lo_u16 v168, v252, 13
	v_mul_f64 v[110:111], v[54:55], s[20:21]
	v_mul_f64 v[104:105], v[82:83], s[20:21]
	;; [unrolled: 1-line block ×4, first 2 shown]
	v_fma_f64 v[58:59], v[94:95], s[18:19], v[156:157]
	v_fma_f64 v[60:61], v[171:172], s[18:19], -v[158:159]
	v_fma_f64 v[66:67], v[94:95], s[6:7], v[162:163]
	v_fma_f64 v[68:69], v[171:172], s[6:7], -v[164:165]
	v_fma_f64 v[70:71], v[94:95], s[16:17], v[166:167]
	v_fma_f64 v[72:73], v[171:172], s[16:17], -v[169:170]
	v_mul_f64 v[120:121], v[82:83], s[30:31]
	v_mul_f64 v[126:127], v[54:55], s[30:31]
	scratch_store_b32 off, v168, off offset:40 ; 4-byte Folded Spill
	v_mul_f64 v[128:129], v[146:147], s[40:41]
	v_fma_f64 v[74:75], v[56:57], s[6:7], v[62:63]
	v_fma_f64 v[76:77], v[175:176], s[6:7], -v[64:65]
	v_fma_f64 v[78:79], v[56:57], s[22:23], v[86:87]
	v_fma_f64 v[80:81], v[175:176], s[22:23], -v[88:89]
	;; [unrolled: 2-line block ×3, first 2 shown]
	v_mul_f64 v[136:137], v[146:147], s[34:35]
	v_mul_f64 v[140:141], v[146:147], s[8:9]
	s_waitcnt_vscnt null, 0x0
	s_barrier
	buffer_gl0_inv
	v_fma_f64 v[112:113], v[132:133], s[16:17], v[106:107]
	v_fma_f64 v[124:125], v[183:184], s[16:17], -v[116:117]
	v_fma_f64 v[130:131], v[132:133], s[28:29], v[122:123]
	v_fma_f64 v[179:180], v[183:184], s[28:29], -v[142:143]
	;; [unrolled: 2-line block ×3, first 2 shown]
	v_fma_f64 v[192:193], v[150:151], s[22:23], -v[110:111]
	v_fma_f64 v[196:197], v[150:151], s[38:39], -v[118:119]
	v_add_f64 v[100:101], v[16:17], v[58:59]
	v_add_f64 v[108:109], v[18:19], v[60:61]
	;; [unrolled: 1-line block ×7, first 2 shown]
	v_add_f64 v[60:61], v[40:41], -v[20:21]
	v_fma_f64 v[200:201], v[150:151], s[18:19], -v[126:127]
	v_add_f64 v[74:75], v[74:75], v[100:101]
	v_add_f64 v[76:77], v[76:77], v[108:109]
	;; [unrolled: 1-line block ×7, first 2 shown]
	v_add_f64 v[66:67], v[28:29], -v[24:25]
	v_mul_f64 v[134:135], v[60:61], s[40:41]
	v_mul_f64 v[138:139], v[60:61], s[34:35]
	;; [unrolled: 1-line block ×3, first 2 shown]
	v_fma_f64 v[190:191], v[58:59], s[22:23], v[104:105]
	v_fma_f64 v[194:195], v[58:59], s[38:39], v[114:115]
	;; [unrolled: 1-line block ×3, first 2 shown]
	v_add_f64 v[90:91], v[28:29], v[24:25]
	v_mul_f64 v[92:93], v[177:178], s[26:27]
	v_mul_f64 v[108:109], v[177:178], s[30:31]
	v_add_f64 v[74:75], v[112:113], v[74:75]
	v_add_f64 v[76:77], v[124:125], v[76:77]
	;; [unrolled: 1-line block ×7, first 2 shown]
	v_mul_f64 v[100:101], v[66:67], s[26:27]
	v_mul_f64 v[112:113], v[66:67], s[30:31]
	;; [unrolled: 1-line block ×4, first 2 shown]
	v_fma_f64 v[186:187], v[80:81], s[38:39], v[128:129]
	v_fma_f64 v[188:189], v[160:161], s[38:39], -v[134:135]
	v_fma_f64 v[202:203], v[80:81], s[16:17], v[136:137]
	v_fma_f64 v[204:205], v[160:161], s[16:17], -v[138:139]
	;; [unrolled: 2-line block ×3, first 2 shown]
	v_add_f64 v[74:75], v[190:191], v[74:75]
	v_add_f64 v[76:77], v[192:193], v[76:77]
	;; [unrolled: 1-line block ×6, first 2 shown]
	v_fma_f64 v[190:191], v[90:91], s[28:29], v[92:93]
	v_fma_f64 v[192:193], v[179:180], s[28:29], -v[100:101]
	v_fma_f64 v[194:195], v[90:91], s[18:19], v[108:109]
	v_fma_f64 v[196:197], v[179:180], s[18:19], -v[112:113]
	;; [unrolled: 2-line block ×3, first 2 shown]
	v_add_f64 v[74:75], v[186:187], v[74:75]
	v_add_f64 v[186:187], v[188:189], v[76:77]
	;; [unrolled: 1-line block ×12, first 2 shown]
	s_and_saveexec_b32 s33, vcc_lo
	s_cbranch_execz .LBB0_7
; %bb.6:
	v_add_f64 v[34:35], v[18:19], v[34:35]
	v_add_f64 v[32:33], v[16:17], v[32:33]
	v_mul_f64 v[186:187], v[171:172], s[18:19]
	v_mul_f64 v[188:189], v[94:95], s[6:7]
	;; [unrolled: 1-line block ×4, first 2 shown]
	s_mov_b32 s45, 0x3fcea1e5
	s_mov_b32 s44, s26
	v_mul_f64 v[196:197], v[175:176], s[6:7]
	v_mul_f64 v[198:199], v[56:57], s[22:23]
	;; [unrolled: 1-line block ×17, first 2 shown]
	s_mov_b32 s43, 0x3fea55e2
	s_mov_b32 s42, s8
	v_mul_f64 v[210:211], v[132:133], s[28:29]
	v_mul_f64 v[214:215], v[132:133], s[22:23]
	;; [unrolled: 1-line block ×5, first 2 shown]
	v_add_f64 v[34:35], v[34:35], v[38:39]
	v_add_f64 v[32:33], v[32:33], v[36:37]
	v_mul_f64 v[36:37], v[171:172], s[28:29]
	v_mul_f64 v[38:39], v[173:174], s[26:27]
	v_add_f64 v[162:163], v[188:189], -v[162:163]
	v_add_f64 v[166:167], v[192:193], -v[166:167]
	v_add_f64 v[158:159], v[158:159], v[186:187]
	v_mul_f64 v[186:187], v[80:81], s[16:17]
	v_add_f64 v[64:65], v[64:65], v[196:197]
	v_add_f64 v[86:87], v[198:199], -v[86:87]
	v_add_f64 v[88:89], v[88:89], v[200:201]
	v_add_f64 v[98:99], v[98:99], v[204:205]
	v_mul_f64 v[196:197], v[82:83], s[10:11]
	v_add_f64 v[142:143], v[142:143], v[212:213]
	v_add_f64 v[152:153], v[152:153], v[216:217]
	v_mul_f64 v[212:213], v[150:151], s[28:29]
	v_fma_f64 v[248:249], v[56:57], s[18:19], v[220:221]
	v_fma_f64 v[220:221], v[56:57], s[18:19], -v[220:221]
	v_fma_f64 v[250:251], v[102:103], s[42:43], v[224:225]
	v_add_f64 v[116:117], v[116:117], v[208:209]
	v_mul_f64 v[188:189], v[160:161], s[16:17]
	v_mul_f64 v[216:217], v[160:161], s[6:7]
	v_add_f64 v[84:85], v[202:203], -v[84:85]
	v_mul_f64 v[202:203], v[150:151], s[6:7]
	v_add_f64 v[62:63], v[194:195], -v[62:63]
	v_mul_f64 v[200:201], v[90:91], s[18:19]
	v_mul_f64 v[198:199], v[179:180], s[18:19]
	v_add_f64 v[122:123], v[210:211], -v[122:123]
	v_add_f64 v[148:149], v[214:215], -v[148:149]
	;; [unrolled: 1-line block ×3, first 2 shown]
	v_mul_f64 v[206:207], v[160:161], s[22:23]
	v_add_f64 v[110:111], v[110:111], v[226:227]
	v_add_f64 v[104:105], v[222:223], -v[104:105]
	v_mul_f64 v[194:195], v[90:91], s[38:39]
	v_mul_f64 v[210:211], v[179:180], s[38:39]
	;; [unrolled: 1-line block ×5, first 2 shown]
	v_add_f64 v[34:35], v[34:35], v[46:47]
	v_add_f64 v[32:33], v[32:33], v[44:45]
	v_mul_f64 v[44:45], v[171:172], s[38:39]
	v_mul_f64 v[46:47], v[173:174], s[40:41]
	;; [unrolled: 1-line block ×3, first 2 shown]
	v_fma_f64 v[234:235], v[96:97], s[44:45], v[36:37]
	v_fma_f64 v[236:237], v[94:95], s[28:29], v[38:39]
	v_fma_f64 v[36:37], v[96:97], s[26:27], v[36:37]
	v_fma_f64 v[38:39], v[94:95], s[28:29], -v[38:39]
	v_add_f64 v[166:167], v[16:17], v[166:167]
	v_add_f64 v[162:163], v[16:17], v[162:163]
	v_add_f64 v[136:137], v[186:187], -v[136:137]
	v_add_f64 v[138:139], v[138:139], v[188:189]
	v_add_f64 v[108:109], v[200:201], -v[108:109]
	;; [unrolled: 2-line block ×3, first 2 shown]
	v_add_f64 v[34:35], v[34:35], v[50:51]
	v_add_f64 v[32:33], v[32:33], v[48:49]
	v_mul_f64 v[48:49], v[171:172], s[22:23]
	v_mul_f64 v[50:51], v[94:95], s[18:19]
	;; [unrolled: 1-line block ×3, first 2 shown]
	v_fma_f64 v[238:239], v[96:97], s[36:37], v[44:45]
	v_fma_f64 v[240:241], v[94:95], s[38:39], v[46:47]
	;; [unrolled: 1-line block ×3, first 2 shown]
	v_fma_f64 v[46:47], v[94:95], s[38:39], -v[46:47]
	v_fma_f64 v[244:245], v[94:95], s[22:23], v[173:174]
	v_fma_f64 v[94:95], v[94:95], s[22:23], -v[173:174]
	v_add_f64 v[234:235], v[18:19], v[234:235]
	v_add_f64 v[236:237], v[16:17], v[236:237]
	;; [unrolled: 1-line block ×6, first 2 shown]
	v_fma_f64 v[162:163], v[58:59], s[16:17], v[196:197]
	v_add_f64 v[34:35], v[34:35], v[42:43]
	v_add_f64 v[32:33], v[32:33], v[40:41]
	v_mul_f64 v[40:41], v[175:176], s[18:19]
	v_mul_f64 v[175:176], v[175:176], s[38:39]
	v_fma_f64 v[242:243], v[96:97], s[24:25], v[48:49]
	v_fma_f64 v[48:49], v[96:97], s[20:21], v[48:49]
	v_add_f64 v[96:97], v[169:170], v[190:191]
	v_add_f64 v[164:165], v[164:165], v[171:172]
	v_add_f64 v[50:51], v[50:51], -v[156:157]
	v_mul_f64 v[42:43], v[181:182], s[40:41]
	v_mul_f64 v[181:182], v[181:182], s[30:31]
	v_fma_f64 v[190:191], v[102:103], s[36:37], v[218:219]
	v_fma_f64 v[218:219], v[102:103], s[40:41], v[218:219]
	v_add_f64 v[238:239], v[18:19], v[238:239]
	v_add_f64 v[240:241], v[16:17], v[240:241]
	v_add_f64 v[44:45], v[18:19], v[44:45]
	v_add_f64 v[46:47], v[16:17], v[46:47]
	v_add_f64 v[244:245], v[16:17], v[244:245]
	v_add_f64 v[94:95], v[16:17], v[94:95]
	v_mul_f64 v[156:157], v[58:59], s[38:39]
	v_mul_f64 v[168:169], v[150:151], s[18:19]
	v_add_f64 v[38:39], v[220:221], v[38:39]
	v_mul_f64 v[220:221], v[82:83], s[42:43]
	v_mul_f64 v[82:83], v[82:83], s[44:45]
	v_add_f64 v[236:237], v[248:249], v[236:237]
	;; [unrolled: 3-line block ×3, first 2 shown]
	v_mul_f64 v[170:171], v[80:81], s[38:39]
	v_add_f64 v[30:31], v[34:35], v[30:31]
	v_add_f64 v[28:29], v[32:33], v[28:29]
	v_fma_f64 v[192:193], v[52:53], s[0:1], v[40:41]
	v_fma_f64 v[40:41], v[52:53], s[30:31], v[40:41]
	v_add_f64 v[242:243], v[18:19], v[242:243]
	v_add_f64 v[48:49], v[18:19], v[48:49]
	;; [unrolled: 1-line block ×6, first 2 shown]
	v_fma_f64 v[50:51], v[52:53], s[10:11], v[228:229]
	v_fma_f64 v[158:159], v[132:133], s[6:7], v[230:231]
	;; [unrolled: 1-line block ×3, first 2 shown]
	v_fma_f64 v[42:43], v[132:133], s[38:39], -v[42:43]
	v_mul_f64 v[32:33], v[150:151], s[38:39]
	v_mul_f64 v[34:35], v[58:59], s[18:19]
	;; [unrolled: 1-line block ×3, first 2 shown]
	v_add_f64 v[114:115], v[156:157], -v[114:115]
	v_add_f64 v[126:127], v[126:127], v[168:169]
	v_fma_f64 v[156:157], v[58:59], s[28:29], v[82:83]
	v_add_f64 v[134:135], v[134:135], v[172:173]
	v_add_f64 v[128:129], v[170:171], -v[128:129]
	v_add_f64 v[26:27], v[30:31], v[26:27]
	v_add_f64 v[24:25], v[28:29], v[24:25]
	v_fma_f64 v[28:29], v[56:57], s[16:17], v[232:233]
	v_fma_f64 v[30:31], v[102:103], s[8:9], v[224:225]
	;; [unrolled: 1-line block ×3, first 2 shown]
	v_fma_f64 v[228:229], v[132:133], s[6:7], -v[230:231]
	v_fma_f64 v[230:231], v[56:57], s[16:17], -v[232:233]
	v_fma_f64 v[232:233], v[102:103], s[0:1], v[183:184]
	v_fma_f64 v[102:103], v[102:103], s[30:31], v[183:184]
	;; [unrolled: 1-line block ×5, first 2 shown]
	v_fma_f64 v[132:133], v[132:133], s[18:19], -v[181:182]
	v_fma_f64 v[181:182], v[56:57], s[38:39], v[154:155]
	v_fma_f64 v[56:57], v[56:57], s[38:39], -v[154:155]
	v_add_f64 v[192:193], v[192:193], v[234:235]
	v_add_f64 v[36:37], v[40:41], v[36:37]
	;; [unrolled: 1-line block ×6, first 2 shown]
	v_mul_f64 v[238:239], v[160:161], s[18:19]
	v_mul_f64 v[160:161], v[160:161], s[28:29]
	v_fma_f64 v[62:63], v[54:55], s[26:27], v[212:213]
	v_fma_f64 v[64:65], v[54:55], s[44:45], v[212:213]
	v_add_f64 v[34:35], v[34:35], -v[120:121]
	v_add_f64 v[32:33], v[118:119], v[32:33]
	v_fma_f64 v[118:119], v[58:59], s[6:7], v[220:221]
	v_fma_f64 v[120:121], v[58:59], s[6:7], -v[220:221]
	v_add_f64 v[38:39], v[42:43], v[38:39]
	v_mul_f64 v[154:155], v[80:81], s[6:7]
	v_add_f64 v[164:165], v[246:247], v[236:237]
	v_mul_f64 v[40:41], v[179:180], s[22:23]
	v_mul_f64 v[234:235], v[177:178], s[34:35]
	v_mul_f64 v[179:180], v[179:180], s[6:7]
	v_add_f64 v[22:23], v[26:27], v[22:23]
	v_add_f64 v[20:21], v[24:25], v[20:21]
	;; [unrolled: 1-line block ×3, first 2 shown]
	v_fma_f64 v[24:25], v[54:55], s[8:9], v[202:203]
	v_add_f64 v[44:45], v[224:225], v[44:45]
	v_mul_f64 v[224:225], v[146:147], s[30:31]
	v_add_f64 v[46:47], v[230:231], v[46:47]
	v_fma_f64 v[26:27], v[54:55], s[42:43], v[202:203]
	v_mul_f64 v[146:147], v[146:147], s[44:45]
	v_mul_f64 v[240:241], v[177:178], s[20:21]
	v_add_f64 v[48:49], v[52:53], v[48:49]
	v_add_f64 v[52:53], v[98:99], v[96:97]
	v_fma_f64 v[98:99], v[54:55], s[34:35], v[150:151]
	v_add_f64 v[96:97], v[181:182], v[244:245]
	v_add_f64 v[56:57], v[56:57], v[94:95]
	;; [unrolled: 1-line block ×3, first 2 shown]
	v_fma_f64 v[54:55], v[54:55], s[10:11], v[150:151]
	v_fma_f64 v[150:151], v[58:59], s[16:17], -v[196:197]
	v_fma_f64 v[58:59], v[58:59], s[28:29], -v[82:83]
	v_add_f64 v[82:83], v[190:191], v[192:193]
	v_add_f64 v[36:37], v[218:219], v[36:37]
	;; [unrolled: 1-line block ×6, first 2 shown]
	v_fma_f64 v[116:117], v[60:61], s[30:31], v[238:239]
	v_add_f64 v[142:143], v[144:145], v[216:217]
	v_add_f64 v[34:35], v[34:35], v[84:85]
	v_mul_f64 v[176:177], v[177:178], s[42:43]
	v_add_f64 v[140:141], v[154:155], -v[140:141]
	v_add_f64 v[14:15], v[22:23], v[14:15]
	v_add_f64 v[12:13], v[20:21], v[12:13]
	v_add_f64 v[28:29], v[158:159], v[28:29]
	v_fma_f64 v[20:21], v[60:61], s[24:25], v[206:207]
	v_add_f64 v[30:31], v[30:31], v[44:45]
	v_fma_f64 v[106:107], v[80:81], s[18:19], v[224:225]
	v_add_f64 v[46:47], v[228:229], v[46:47]
	v_fma_f64 v[22:23], v[80:81], s[22:23], v[248:249]
	v_fma_f64 v[144:145], v[80:81], s[28:29], v[146:147]
	v_fma_f64 v[84:85], v[90:91], s[22:23], -v[240:241]
	v_add_f64 v[44:45], v[102:103], v[48:49]
	v_add_f64 v[48:49], v[152:153], v[52:53]
	;; [unrolled: 1-line block ×6, first 2 shown]
	v_fma_f64 v[94:95], v[60:61], s[20:21], v[206:207]
	v_fma_f64 v[96:97], v[80:81], s[22:23], -v[248:249]
	v_fma_f64 v[102:103], v[60:61], s[0:1], v[238:239]
	v_fma_f64 v[132:133], v[60:61], s[26:27], v[160:161]
	;; [unrolled: 1-line block ×3, first 2 shown]
	v_add_f64 v[24:25], v[24:25], v[82:83]
	v_add_f64 v[26:27], v[26:27], v[36:37]
	;; [unrolled: 1-line block ×5, first 2 shown]
	v_fma_f64 v[122:123], v[80:81], s[18:19], -v[224:225]
	v_fma_f64 v[80:81], v[80:81], s[28:29], -v[146:147]
	v_add_f64 v[82:83], v[118:119], v[164:165]
	v_add_f64 v[18:19], v[110:111], v[18:19]
	v_fma_f64 v[62:63], v[66:67], s[24:25], v[40:41]
	v_fma_f64 v[40:41], v[66:67], s[20:21], v[40:41]
	v_add_f64 v[34:35], v[140:141], v[34:35]
	v_fma_f64 v[110:111], v[90:91], s[6:7], v[176:177]
	v_add_f64 v[10:11], v[14:15], v[10:11]
	v_add_f64 v[8:9], v[12:13], v[8:9]
	;; [unrolled: 1-line block ×5, first 2 shown]
	v_fma_f64 v[64:65], v[90:91], s[22:23], v[240:241]
	v_add_f64 v[46:47], v[58:59], v[46:47]
	v_add_f64 v[104:105], v[112:113], v[198:199]
	v_fma_f64 v[58:59], v[90:91], s[16:17], -v[234:235]
	v_fma_f64 v[14:15], v[66:67], s[10:11], v[208:209]
	v_add_f64 v[42:43], v[54:55], v[44:45]
	v_add_f64 v[44:45], v[126:127], v[48:49]
	;; [unrolled: 1-line block ×6, first 2 shown]
	v_fma_f64 v[56:57], v[66:67], s[34:35], v[208:209]
	v_add_f64 v[88:89], v[130:131], v[210:211]
	v_add_f64 v[98:99], v[194:195], -v[124:125]
	v_fma_f64 v[16:17], v[90:91], s[16:17], v[234:235]
	v_fma_f64 v[86:87], v[66:67], s[8:9], v[179:180]
	v_add_f64 v[20:21], v[20:21], v[24:25]
	v_add_f64 v[24:25], v[94:95], v[26:27]
	;; [unrolled: 1-line block ×5, first 2 shown]
	v_fma_f64 v[66:67], v[66:67], s[42:43], v[179:180]
	v_fma_f64 v[90:91], v[90:91], s[6:7], -v[176:177]
	v_add_f64 v[22:23], v[22:23], v[82:83]
	v_add_f64 v[28:29], v[106:107], v[28:29]
	;; [unrolled: 1-line block ×25, first 2 shown]
	v_mul_lo_u16 v40, v252, 13
	v_add_f64 v[22:23], v[66:67], v[38:39]
	v_add_f64 v[26:27], v[88:89], v[42:43]
	;; [unrolled: 1-line block ×9, first 2 shown]
	v_and_b32_e32 v40, 0xffff, v40
	s_delay_alu instid0(VALU_DEP_1)
	v_add_lshl_u32 v40, v185, v40, 4
	ds_store_b128 v40, v[68:71] offset:160
	ds_store_b128 v40, v[72:75] offset:176
	;; [unrolled: 1-line block ×10, first 2 shown]
	ds_store_b128 v40, v[0:3]
	ds_store_b128 v40, v[36:39] offset:16
	ds_store_b128 v40, v[76:79] offset:192
.LBB0_7:
	s_or_b32 exec_lo, exec_lo, s33
	v_add_co_u32 v124, s0, 0x5b, v252
	v_add_co_u32 v2, null, 0xb6, v252
	v_add_co_u32 v3, null, 0x111, v252
	v_and_b32_e32 v0, 0xff, v252
	s_delay_alu instid0(VALU_DEP_4) | instskip(SKIP_2) | instid1(VALU_DEP_4)
	v_and_b32_e32 v4, 0xff, v124
	v_add_co_u32 v5, null, 0x16c, v252
	v_and_b32_e32 v6, 0xffff, v2
	v_mul_lo_u16 v1, 0x4f, v0
	v_and_b32_e32 v7, 0xffff, v3
	v_mul_lo_u16 v0, 0x4f, v4
	v_and_b32_e32 v4, 0xffff, v5
	v_mul_u32_u24_e32 v6, 0x4ec5, v6
	v_lshrrev_b16 v66, 10, v1
	v_mul_u32_u24_e32 v7, 0x4ec5, v7
	v_lshrrev_b16 v67, 10, v0
	v_mul_u32_u24_e32 v4, 0x4ec5, v4
	v_lshrrev_b32_e32 v84, 18, v6
	v_mul_lo_u16 v6, v66, 13
	v_lshrrev_b32_e32 v85, 18, v7
	v_mul_lo_u16 v7, v67, 13
	v_lshrrev_b32_e32 v86, 18, v4
	v_mul_lo_u16 v4, v84, 13
	v_sub_nc_u16 v6, v252, v6
	v_mul_lo_u16 v8, v85, 13
	v_sub_nc_u16 v7, v124, v7
	v_mul_lo_u16 v9, v86, 13
	v_sub_nc_u16 v87, v2, v4
	v_and_b32_e32 v96, 0xff, v6
	v_sub_nc_u16 v97, v3, v8
	v_and_b32_e32 v98, 0xff, v7
	;; [unrolled: 2-line block ×3, first 2 shown]
	v_lshlrev_b32_e32 v3, 4, v96
	v_and_b32_e32 v4, 0xffff, v97
	v_lshlrev_b32_e32 v5, 4, v98
	v_and_b32_e32 v6, 0xffff, v99
	v_lshlrev_b32_e32 v2, 4, v2
	s_load_b128 s[4:7], s[4:5], 0x0
	s_waitcnt lgkmcnt(0)
	s_barrier
	buffer_gl0_inv
	s_clause 0x1
	global_load_b128 v[32:35], v3, s[2:3]
	global_load_b128 v[36:39], v5, s[2:3]
	v_lshlrev_b32_e32 v3, 4, v4
	v_lshlrev_b32_e32 v4, 4, v6
	s_clause 0x2
	global_load_b128 v[40:43], v2, s[2:3]
	global_load_b128 v[28:31], v3, s[2:3]
	;; [unrolled: 1-line block ×3, first 2 shown]
	v_add_lshl_u32 v168, v185, v252, 4
	ds_load_b128 v[2:5], v168 offset:7280
	ds_load_b128 v[6:9], v168 offset:8736
	;; [unrolled: 1-line block ×6, first 2 shown]
	v_add_co_ci_u32_e64 v125, null, 0, 0, s0
	v_cmp_gt_u16_e64 s0, 39, v252
                                        ; implicit-def: $vgpr120_vgpr121
	s_waitcnt vmcnt(4) lgkmcnt(5)
	v_mul_f64 v[22:23], v[4:5], v[34:35]
	v_mul_f64 v[48:49], v[2:3], v[34:35]
	s_waitcnt vmcnt(3) lgkmcnt(4)
	v_mul_f64 v[50:51], v[8:9], v[38:39]
	v_mul_f64 v[52:53], v[6:7], v[38:39]
	;; [unrolled: 3-line block ×5, first 2 shown]
	v_fma_f64 v[22:23], v[2:3], v[32:33], -v[22:23]
	v_fma_f64 v[48:49], v[4:5], v[32:33], v[48:49]
	v_fma_f64 v[50:51], v[6:7], v[36:37], -v[50:51]
	v_fma_f64 v[52:53], v[8:9], v[36:37], v[52:53]
	;; [unrolled: 2-line block ×5, first 2 shown]
	ds_load_b128 v[2:5], v168
	ds_load_b128 v[6:9], v168 offset:1456
	ds_load_b128 v[10:13], v168 offset:2912
	;; [unrolled: 1-line block ×3, first 2 shown]
	s_waitcnt lgkmcnt(0)
	s_barrier
	buffer_gl0_inv
	v_add_f64 v[18:19], v[2:3], -v[22:23]
	v_add_f64 v[20:21], v[4:5], -v[48:49]
	v_add_f64 v[48:49], v[6:7], -v[50:51]
	v_add_f64 v[50:51], v[8:9], -v[52:53]
	v_add_f64 v[52:53], v[10:11], -v[54:55]
	v_add_f64 v[54:55], v[12:13], -v[56:57]
	v_add_f64 v[80:81], v[14:15], -v[58:59]
	v_add_f64 v[82:83], v[16:17], -v[60:61]
	v_add_f64 v[88:89], v[44:45], -v[62:63]
	v_add_f64 v[90:91], v[46:47], -v[64:65]
	v_and_b32_e32 v22, 0xffff, v66
	v_and_b32_e32 v23, 0xffff, v67
	s_delay_alu instid0(VALU_DEP_2) | instskip(NEXT) | instid1(VALU_DEP_2)
	v_mul_u32_u24_e32 v22, 26, v22
	v_mul_u32_u24_e32 v23, 26, v23
	s_delay_alu instid0(VALU_DEP_2) | instskip(NEXT) | instid1(VALU_DEP_1)
	v_add_nc_u32_e32 v22, v22, v96
	v_add_lshl_u32 v56, v185, v22, 4
	s_delay_alu instid0(VALU_DEP_3)
	v_add_nc_u32_e32 v22, v23, v98
	scratch_store_b32 off, v56, off offset:32 ; 4-byte Folded Spill
	v_fma_f64 v[2:3], v[2:3], 2.0, -v[18:19]
	v_fma_f64 v[4:5], v[4:5], 2.0, -v[20:21]
	v_fma_f64 v[6:7], v[6:7], 2.0, -v[48:49]
	v_fma_f64 v[8:9], v[8:9], 2.0, -v[50:51]
	v_fma_f64 v[10:11], v[10:11], 2.0, -v[52:53]
	v_fma_f64 v[12:13], v[12:13], 2.0, -v[54:55]
	v_fma_f64 v[14:15], v[14:15], 2.0, -v[80:81]
	v_fma_f64 v[16:17], v[16:17], 2.0, -v[82:83]
	v_fma_f64 v[92:93], v[44:45], 2.0, -v[88:89]
	v_fma_f64 v[94:95], v[46:47], 2.0, -v[90:91]
	v_mad_u16 v44, v84, 26, v87
	v_mad_u16 v45, v85, 26, v97
	;; [unrolled: 1-line block ×3, first 2 shown]
	v_add_lshl_u32 v47, v185, v22, 4
	s_delay_alu instid0(VALU_DEP_4) | instskip(NEXT) | instid1(VALU_DEP_4)
	v_and_b32_e32 v23, 0xffff, v44
	v_and_b32_e32 v44, 0xffff, v45
	s_delay_alu instid0(VALU_DEP_4) | instskip(NEXT) | instid1(VALU_DEP_3)
	v_and_b32_e32 v45, 0xffff, v46
	v_add_lshl_u32 v46, v185, v23, 4
	s_delay_alu instid0(VALU_DEP_3) | instskip(NEXT) | instid1(VALU_DEP_3)
	v_add_lshl_u32 v23, v185, v44, 4
	v_add_lshl_u32 v22, v185, v45, 4
	ds_store_b128 v56, v[2:5]
	ds_store_b128 v56, v[18:21] offset:208
	ds_store_b128 v47, v[6:9]
	scratch_store_b32 off, v47, off offset:28 ; 4-byte Folded Spill
	ds_store_b128 v47, v[48:51] offset:208
	ds_store_b128 v46, v[10:13]
	scratch_store_b32 off, v46, off offset:24 ; 4-byte Folded Spill
	;; [unrolled: 3-line block ×4, first 2 shown]
	ds_store_b128 v22, v[88:91] offset:208
	s_waitcnt lgkmcnt(0)
	s_waitcnt_vscnt null, 0x0
	s_barrier
	buffer_gl0_inv
	ds_load_b128 v[84:87], v168
	ds_load_b128 v[112:115], v168 offset:2080
	ds_load_b128 v[108:111], v168 offset:4160
	;; [unrolled: 1-line block ×6, first 2 shown]
	s_and_saveexec_b32 s1, s0
	s_cbranch_execz .LBB0_9
; %bb.8:
	ds_load_b128 v[80:83], v168 offset:1456
	ds_load_b128 v[92:95], v168 offset:3536
	;; [unrolled: 1-line block ×7, first 2 shown]
.LBB0_9:
	s_or_b32 exec_lo, exec_lo, s1
	v_lshrrev_b16 v126, 11, v1
	v_lshrrev_b16 v0, 11, v0
	s_mov_b32 s8, 0x37e14327
	s_mov_b32 s10, 0x36b3c0b5
	;; [unrolled: 1-line block ×3, first 2 shown]
	v_mul_lo_u16 v1, v126, 26
	scratch_store_b32 off, v0, off offset:8 ; 4-byte Folded Spill
	v_mul_lo_u16 v0, v0, 26
	s_mov_b32 s18, 0x429ad128
	s_mov_b32 s9, 0x3fe948f6
	v_sub_nc_u16 v1, v252, v1
	s_mov_b32 s11, 0x3fac98ee
	v_sub_nc_u16 v0, v124, v0
	s_mov_b32 s17, 0xbfe11646
	s_mov_b32 s19, 0x3febfeb5
	v_and_b32_e32 v167, 0xff, v1
	s_mov_b32 s22, 0xb247c609
	v_and_b32_e32 v0, 0xff, v0
	s_mov_b32 s21, 0xbfe77f67
	s_mov_b32 s23, 0x3fd5d0dc
	v_mad_u64_u32 v[12:13], null, 0x60, v167, s[2:3]
	s_delay_alu instid0(VALU_DEP_2)
	v_mad_u64_u32 v[14:15], null, 0x60, v0, s[2:3]
	s_mov_b32 s25, 0xbfd5d0dc
	s_mov_b32 s24, s22
	v_and_b32_e32 v126, 0xffff, v126
	s_clause 0x1
	global_load_b128 v[56:59], v[12:13], off offset:208
	global_load_b128 v[48:51], v[12:13], off offset:224
	scratch_store_b32 off, v0, off offset:12 ; 4-byte Folded Spill
	s_clause 0x9
	global_load_b128 v[52:55], v[12:13], off offset:288
	global_load_b128 v[44:47], v[12:13], off offset:272
	;; [unrolled: 1-line block ×10, first 2 shown]
	v_mul_u32_u24_e32 v126, 0xb6, v126
	s_delay_alu instid0(VALU_DEP_1) | instskip(NEXT) | instid1(VALU_DEP_1)
	v_add_nc_u32_e32 v126, v126, v167
	v_add_lshl_u32 v251, v185, v126, 4
	s_waitcnt vmcnt(9) lgkmcnt(0)
	v_mul_f64 v[135:136], v[118:119], v[54:55]
	v_mul_f64 v[137:138], v[116:117], v[54:55]
	s_waitcnt vmcnt(8)
	v_mul_f64 v[139:140], v[106:107], v[46:47]
	v_mul_f64 v[141:142], v[104:105], v[46:47]
	s_waitcnt vmcnt(7)
	v_mul_f64 v[143:144], v[94:95], v[6:7]
	v_mul_f64 v[145:146], v[92:93], v[6:7]
	;; [unrolled: 1-line block ×6, first 2 shown]
	s_waitcnt vmcnt(6)
	v_mul_f64 v[147:148], v[90:91], v[2:3]
	v_mul_f64 v[149:150], v[88:89], v[2:3]
	s_waitcnt vmcnt(5)
	v_mul_f64 v[151:152], v[122:123], v[10:11]
	v_mul_f64 v[153:154], v[120:121], v[10:11]
	s_waitcnt vmcnt(4)
	v_mul_f64 v[155:156], v[78:79], v[22:23]
	v_mul_f64 v[157:158], v[76:77], v[22:23]
	s_waitcnt vmcnt(3)
	v_mul_f64 v[159:160], v[102:103], v[66:67]
	v_mul_f64 v[161:162], v[100:101], v[66:67]
	s_waitcnt vmcnt(2)
	v_mul_f64 v[163:164], v[98:99], v[62:63]
	v_mul_f64 v[165:166], v[96:97], v[62:63]
	s_clause 0x2
	scratch_store_b128 off, v[4:7], off offset:60
	scratch_store_b128 off, v[0:3], off offset:44
	;; [unrolled: 1-line block ×3, first 2 shown]
	s_waitcnt vmcnt(0)
	s_waitcnt_vscnt null, 0x0
	s_barrier
	buffer_gl0_inv
	v_fma_f64 v[116:117], v[116:117], v[52:53], -v[135:136]
	v_fma_f64 v[118:119], v[118:119], v[52:53], v[137:138]
	v_fma_f64 v[104:105], v[104:105], v[44:45], -v[139:140]
	v_fma_f64 v[106:107], v[106:107], v[44:45], v[141:142]
	;; [unrolled: 2-line block ×5, first 2 shown]
	v_mul_f64 v[127:128], v[70:71], v[18:19]
	v_mul_f64 v[129:130], v[68:69], v[18:19]
	;; [unrolled: 1-line block ×4, first 2 shown]
	v_fma_f64 v[88:89], v[88:89], v[0:1], -v[147:148]
	v_fma_f64 v[90:91], v[90:91], v[0:1], v[149:150]
	v_fma_f64 v[120:121], v[120:121], v[8:9], -v[151:152]
	v_fma_f64 v[122:123], v[122:123], v[8:9], v[153:154]
	;; [unrolled: 2-line block ×5, first 2 shown]
	v_add_f64 v[135:136], v[112:113], v[116:117]
	v_add_f64 v[137:138], v[114:115], v[118:119]
	;; [unrolled: 1-line block ×4, first 2 shown]
	v_fma_f64 v[68:69], v[68:69], v[16:17], -v[127:128]
	v_fma_f64 v[70:71], v[70:71], v[16:17], v[129:130]
	v_fma_f64 v[72:73], v[72:73], v[12:13], -v[131:132]
	v_fma_f64 v[74:75], v[74:75], v[12:13], v[133:134]
	v_add_f64 v[104:105], v[108:109], -v[104:105]
	v_add_f64 v[106:107], v[110:111], -v[106:107]
	v_add_f64 v[127:128], v[92:93], v[120:121]
	v_add_f64 v[129:130], v[94:95], v[122:123]
	;; [unrolled: 1-line block ×4, first 2 shown]
	v_add_f64 v[76:77], v[88:89], -v[76:77]
	v_add_f64 v[78:79], v[90:91], -v[78:79]
	v_add_f64 v[108:109], v[100:101], v[96:97]
	v_add_f64 v[110:111], v[102:103], v[98:99]
	v_add_f64 v[96:97], v[96:97], -v[100:101]
	v_add_f64 v[98:99], v[98:99], -v[102:103]
	;; [unrolled: 1-line block ×6, first 2 shown]
	v_add_f64 v[112:113], v[139:140], v[135:136]
	v_add_f64 v[114:115], v[141:142], v[137:138]
	;; [unrolled: 1-line block ×4, first 2 shown]
	v_add_f64 v[68:69], v[72:73], -v[68:69]
	v_add_f64 v[70:71], v[74:75], -v[70:71]
	v_add_f64 v[72:73], v[131:132], v[127:128]
	v_add_f64 v[74:75], v[133:134], v[129:130]
	v_add_f64 v[116:117], v[135:136], -v[108:109]
	v_add_f64 v[118:119], v[137:138], -v[110:111]
	v_add_f64 v[120:121], v[96:97], -v[104:105]
	v_add_f64 v[122:123], v[98:99], -v[106:107]
	v_add_f64 v[143:144], v[104:105], -v[100:101]
	v_add_f64 v[145:146], v[106:107], -v[102:103]
	v_add_f64 v[155:156], v[76:77], -v[92:93]
	v_add_f64 v[157:158], v[78:79], -v[94:95]
	v_add_f64 v[135:136], v[139:140], -v[135:136]
	v_add_f64 v[137:138], v[141:142], -v[137:138]
	v_add_f64 v[104:105], v[96:97], v[104:105]
	v_add_f64 v[106:107], v[98:99], v[106:107]
	v_add_f64 v[96:97], v[100:101], -v[96:97]
	v_add_f64 v[98:99], v[102:103], -v[98:99]
	v_add_f64 v[112:113], v[108:109], v[112:113]
	v_add_f64 v[114:115], v[110:111], v[114:115]
	v_add_f64 v[108:109], v[108:109], -v[139:140]
	v_add_f64 v[110:111], v[110:111], -v[141:142]
	;; [unrolled: 1-line block ×8, first 2 shown]
	v_add_f64 v[72:73], v[88:89], v[72:73]
	v_add_f64 v[74:75], v[90:91], v[74:75]
	;; [unrolled: 1-line block ×4, first 2 shown]
	v_mul_f64 v[116:117], v[116:117], s[8:9]
	v_mul_f64 v[118:119], v[118:119], s[8:9]
	;; [unrolled: 1-line block ×4, first 2 shown]
	v_add_f64 v[127:128], v[131:132], -v[127:128]
	v_add_f64 v[129:130], v[133:134], -v[129:130]
	v_mul_f64 v[131:132], v[143:144], s[18:19]
	v_mul_f64 v[133:134], v[145:146], s[18:19]
	v_add_f64 v[100:101], v[104:105], v[100:101]
	v_add_f64 v[102:103], v[106:107], v[102:103]
	;; [unrolled: 1-line block ×4, first 2 shown]
	v_add_f64 v[84:85], v[92:93], -v[68:69]
	v_add_f64 v[86:87], v[94:95], -v[70:71]
	v_mul_f64 v[139:140], v[108:109], s[10:11]
	v_mul_f64 v[141:142], v[110:111], s[10:11]
	v_mul_f64 v[163:164], v[147:148], s[10:11]
	v_mul_f64 v[165:166], v[149:150], s[10:11]
	v_mul_f64 v[151:152], v[151:152], s[16:17]
	v_mul_f64 v[153:154], v[153:154], s[16:17]
	v_add_f64 v[68:69], v[80:81], v[72:73]
	v_add_f64 v[70:71], v[82:83], v[74:75]
	v_mul_f64 v[80:81], v[155:156], s[18:19]
	v_mul_f64 v[82:83], v[157:158], s[18:19]
	;; [unrolled: 1-line block ×4, first 2 shown]
	s_mov_b32 s16, 0xaaaaaaaa
	s_mov_b32 s8, 0x5476071b
	;; [unrolled: 1-line block ×5, first 2 shown]
	v_add_f64 v[76:77], v[76:77], v[92:93]
	v_add_f64 v[78:79], v[78:79], v[94:95]
	v_fma_f64 v[92:93], v[108:109], s[10:11], v[116:117]
	v_fma_f64 v[94:95], v[110:111], s[10:11], v[118:119]
	;; [unrolled: 1-line block ×4, first 2 shown]
	v_fma_f64 v[108:109], v[143:144], s[18:19], -v[120:121]
	v_fma_f64 v[110:111], v[145:146], s[18:19], -v[122:123]
	;; [unrolled: 1-line block ×6, first 2 shown]
	v_fma_f64 v[112:113], v[112:113], s[16:17], v[88:89]
	v_fma_f64 v[114:115], v[114:115], s[16:17], v[90:91]
	v_fma_f64 v[120:121], v[135:136], s[8:9], -v[139:140]
	v_fma_f64 v[122:123], v[137:138], s[8:9], -v[141:142]
	;; [unrolled: 1-line block ×4, first 2 shown]
	v_fma_f64 v[135:136], v[84:85], s[22:23], v[151:152]
	v_fma_f64 v[137:138], v[86:87], s[22:23], v[153:154]
	v_fma_f64 v[139:140], v[155:156], s[18:19], -v[151:152]
	v_fma_f64 v[141:142], v[157:158], s[18:19], -v[153:154]
	v_fma_f64 v[143:144], v[72:73], s[16:17], v[68:69]
	v_fma_f64 v[145:146], v[74:75], s[16:17], v[70:71]
	v_fma_f64 v[80:81], v[84:85], s[24:25], -v[80:81]
	v_fma_f64 v[82:83], v[86:87], s[24:25], -v[82:83]
	;; [unrolled: 1-line block ×4, first 2 shown]
	v_fma_f64 v[129:130], v[147:148], s[10:11], v[159:160]
	v_fma_f64 v[147:148], v[149:150], s[10:11], v[161:162]
	s_mov_b32 s8, 0x37c3f68c
	s_mov_b32 s9, 0x3fdc38aa
	s_delay_alu instid0(SALU_CYCLE_1)
	v_fma_f64 v[104:105], v[100:101], s[8:9], v[104:105]
	v_fma_f64 v[106:107], v[102:103], s[8:9], v[106:107]
	;; [unrolled: 1-line block ×6, first 2 shown]
	v_add_f64 v[149:150], v[92:93], v[112:113]
	v_add_f64 v[151:152], v[94:95], v[114:115]
	;; [unrolled: 1-line block ×6, first 2 shown]
	v_fma_f64 v[74:75], v[76:77], s[8:9], v[135:136]
	v_fma_f64 v[72:73], v[78:79], s[8:9], v[137:138]
	;; [unrolled: 1-line block ×4, first 2 shown]
	v_add_f64 v[139:140], v[131:132], v[143:144]
	v_add_f64 v[141:142], v[133:134], v[145:146]
	v_fma_f64 v[84:85], v[76:77], s[8:9], v[80:81]
	v_fma_f64 v[76:77], v[78:79], s[8:9], v[82:83]
	v_add_f64 v[78:79], v[86:87], v[143:144]
	v_add_f64 v[86:87], v[127:128], v[145:146]
	;; [unrolled: 1-line block ×5, first 2 shown]
	v_add_f64 v[94:95], v[151:152], -v[104:105]
	v_add_f64 v[96:97], v[102:103], v[153:154]
	v_add_f64 v[98:99], v[155:156], -v[100:101]
	v_add_f64 v[116:117], v[112:113], -v[110:111]
	v_add_f64 v[118:119], v[108:109], v[114:115]
	v_add_f64 v[120:121], v[110:111], v[112:113]
	v_add_f64 v[122:123], v[114:115], -v[108:109]
	v_add_f64 v[127:128], v[153:154], -v[102:103]
	v_add_f64 v[129:130], v[100:101], v[155:156]
	v_add_f64 v[131:132], v[149:150], -v[106:107]
	v_add_f64 v[133:134], v[104:105], v[151:152]
	v_add_f64 v[112:113], v[139:140], -v[137:138]
	v_add_f64 v[114:115], v[135:136], v[141:142]
	v_add_f64 v[108:109], v[137:138], v[139:140]
	v_add_f64 v[110:111], v[141:142], -v[135:136]
	v_add_f64 v[104:105], v[78:79], -v[76:77]
	v_add_f64 v[106:107], v[84:85], v[86:87]
	v_add_f64 v[100:101], v[80:81], -v[72:73]
	v_add_f64 v[102:103], v[74:75], v[82:83]
	ds_store_b128 v251, v[88:91]
	ds_store_b128 v251, v[92:95] offset:416
	ds_store_b128 v251, v[96:99] offset:832
	;; [unrolled: 1-line block ×6, first 2 shown]
	s_and_saveexec_b32 s1, s0
	s_cbranch_execz .LBB0_11
; %bb.10:
	v_add_f64 v[74:75], v[82:83], -v[74:75]
	v_add_f64 v[82:83], v[76:77], v[78:79]
	s_clause 0x1
	scratch_load_b32 v76, off, off offset:8
	scratch_load_b32 v77, off, off offset:12
	v_add_f64 v[72:73], v[72:73], v[80:81]
	v_add_f64 v[84:85], v[86:87], -v[84:85]
	s_waitcnt vmcnt(1)
	v_and_b32_e32 v76, 0xffff, v76
	s_delay_alu instid0(VALU_DEP_1) | instskip(SKIP_1) | instid1(VALU_DEP_1)
	v_mul_u32_u24_e32 v76, 0xb6, v76
	s_waitcnt vmcnt(0)
	v_add_nc_u32_e32 v76, v76, v77
	s_delay_alu instid0(VALU_DEP_1)
	v_add_lshl_u32 v76, v185, v76, 4
	ds_store_b128 v76, v[108:111] offset:1664
	ds_store_b128 v76, v[104:107] offset:2080
	ds_store_b128 v76, v[68:71]
	ds_store_b128 v76, v[72:75] offset:416
	ds_store_b128 v76, v[82:85] offset:832
	;; [unrolled: 1-line block ×4, first 2 shown]
.LBB0_11:
	s_or_b32 exec_lo, exec_lo, s1
	v_lshlrev_b64 v[72:73], 6, v[124:125]
	v_lshlrev_b32_e32 v74, 6, v252
	s_waitcnt lgkmcnt(0)
	s_barrier
	buffer_gl0_inv
	s_clause 0x1
	global_load_b128 v[68:71], v74, s[2:3] offset:2720
	global_load_b128 v[80:83], v74, s[2:3] offset:2704
	v_add_co_u32 v88, s1, s2, v72
	s_delay_alu instid0(VALU_DEP_1)
	v_add_co_ci_u32_e64 v89, s1, s3, v73, s1
	s_clause 0x5
	global_load_b128 v[76:79], v74, s[2:3] offset:2736
	global_load_b128 v[72:75], v74, s[2:3] offset:2752
	global_load_b128 v[84:87], v[88:89], off offset:2704
	global_load_b128 v[96:99], v[88:89], off offset:2720
	;; [unrolled: 1-line block ×4, first 2 shown]
	ds_load_b128 v[116:119], v168 offset:2912
	ds_load_b128 v[120:123], v168 offset:5824
	;; [unrolled: 1-line block ×8, first 2 shown]
	s_mov_b32 s2, 0x134454ff
	s_mov_b32 s3, 0x3fee6f0e
	;; [unrolled: 1-line block ×4, first 2 shown]
	v_lshl_add_u32 v255, v252, 4, v253
	s_waitcnt vmcnt(7) lgkmcnt(6)
	v_mul_f64 v[152:153], v[122:123], v[70:71]
	s_waitcnt vmcnt(6)
	v_mul_f64 v[148:149], v[118:119], v[82:83]
	v_mul_f64 v[150:151], v[116:117], v[82:83]
	;; [unrolled: 1-line block ×3, first 2 shown]
	s_waitcnt vmcnt(5) lgkmcnt(5)
	v_mul_f64 v[156:157], v[126:127], v[78:79]
	v_mul_f64 v[158:159], v[124:125], v[78:79]
	s_waitcnt vmcnt(4) lgkmcnt(4)
	v_mul_f64 v[160:161], v[130:131], v[74:75]
	v_mul_f64 v[162:163], v[128:129], v[74:75]
	s_waitcnt vmcnt(3) lgkmcnt(3)
	v_mul_f64 v[164:165], v[134:135], v[86:87]
	s_waitcnt vmcnt(2) lgkmcnt(2)
	v_mul_f64 v[166:167], v[138:139], v[98:99]
	v_mul_f64 v[169:170], v[136:137], v[98:99]
	s_waitcnt vmcnt(1) lgkmcnt(1)
	v_mul_f64 v[171:172], v[142:143], v[94:95]
	s_waitcnt vmcnt(0) lgkmcnt(0)
	v_mul_f64 v[173:174], v[146:147], v[90:91]
	v_mul_f64 v[175:176], v[140:141], v[94:95]
	;; [unrolled: 1-line block ×4, first 2 shown]
	v_fma_f64 v[152:153], v[120:121], v[68:69], -v[152:153]
	v_fma_f64 v[148:149], v[116:117], v[80:81], -v[148:149]
	v_fma_f64 v[150:151], v[118:119], v[80:81], v[150:151]
	v_fma_f64 v[154:155], v[122:123], v[68:69], v[154:155]
	v_fma_f64 v[124:125], v[124:125], v[76:77], -v[156:157]
	v_fma_f64 v[126:127], v[126:127], v[76:77], v[158:159]
	v_fma_f64 v[128:129], v[128:129], v[72:73], -v[160:161]
	;; [unrolled: 2-line block ×3, first 2 shown]
	v_fma_f64 v[136:137], v[136:137], v[96:97], -v[166:167]
	v_fma_f64 v[138:139], v[138:139], v[96:97], v[169:170]
	v_fma_f64 v[140:141], v[140:141], v[92:93], -v[171:172]
	v_fma_f64 v[144:145], v[144:145], v[88:89], -v[173:174]
	v_fma_f64 v[142:143], v[142:143], v[92:93], v[175:176]
	v_fma_f64 v[134:135], v[134:135], v[84:85], v[177:178]
	;; [unrolled: 1-line block ×3, first 2 shown]
	ds_load_b128 v[116:119], v168
	ds_load_b128 v[120:123], v168 offset:1456
	s_clause 0x1
	scratch_store_b32 off, v252, off offset:36
	scratch_store_b32 off, v253, off offset:4
	s_waitcnt lgkmcnt(1)
	v_add_f64 v[173:174], v[116:117], v[148:149]
	v_add_f64 v[179:180], v[118:119], v[150:151]
	v_add_f64 v[195:196], v[150:151], -v[154:155]
	v_add_f64 v[156:157], v[152:153], v[124:125]
	v_add_f64 v[160:161], v[154:155], v[126:127]
	;; [unrolled: 1-line block ×4, first 2 shown]
	v_add_f64 v[175:176], v[150:151], -v[130:131]
	v_add_f64 v[177:178], v[154:155], -v[126:127]
	;; [unrolled: 1-line block ×3, first 2 shown]
	v_add_f64 v[164:165], v[136:137], v[140:141]
	v_add_f64 v[166:167], v[132:133], v[144:145]
	;; [unrolled: 1-line block ×3, first 2 shown]
	v_add_f64 v[183:184], v[152:153], -v[124:125]
	v_add_f64 v[171:172], v[134:135], v[146:147]
	s_waitcnt lgkmcnt(0)
	v_add_f64 v[185:186], v[120:121], v[132:133]
	v_add_f64 v[187:188], v[122:123], v[134:135]
	v_add_f64 v[189:190], v[134:135], -v[146:147]
	v_add_f64 v[191:192], v[132:133], -v[144:145]
	;; [unrolled: 1-line block ×14, first 2 shown]
	v_add_f64 v[154:155], v[179:180], v[154:155]
	v_fma_f64 v[156:157], v[156:157], -0.5, v[116:117]
	v_fma_f64 v[160:161], v[160:161], -0.5, v[118:119]
	;; [unrolled: 1-line block ×3, first 2 shown]
	v_add_f64 v[158:159], v[138:139], -v[142:143]
	v_fma_f64 v[118:119], v[162:163], -0.5, v[118:119]
	v_add_f64 v[162:163], v[136:137], -v[140:141]
	v_fma_f64 v[164:165], v[164:165], -0.5, v[120:121]
	v_fma_f64 v[120:121], v[166:167], -0.5, v[120:121]
	;; [unrolled: 1-line block ×3, first 2 shown]
	v_add_f64 v[166:167], v[148:149], -v[152:153]
	v_fma_f64 v[122:123], v[171:172], -0.5, v[122:123]
	v_add_f64 v[171:172], v[128:129], -v[124:125]
	v_add_f64 v[148:149], v[152:153], -v[148:149]
	v_add_f64 v[152:153], v[173:174], v[152:153]
	v_add_f64 v[136:137], v[185:186], v[136:137]
	;; [unrolled: 1-line block ×6, first 2 shown]
	v_fma_f64 v[173:174], v[175:176], s[2:3], v[156:157]
	v_fma_f64 v[156:157], v[175:176], s[8:9], v[156:157]
	;; [unrolled: 1-line block ×16, first 2 shown]
	s_mov_b32 s2, 0x4755a5e
	s_mov_b32 s3, 0x3fe2cf23
	s_mov_b32 s9, 0xbfe2cf23
	s_mov_b32 s8, s2
	v_add_f64 v[166:167], v[166:167], v[171:172]
	v_add_f64 v[171:172], v[148:149], v[193:194]
	;; [unrolled: 1-line block ×9, first 2 shown]
	v_fma_f64 v[140:141], v[177:178], s[2:3], v[173:174]
	v_fma_f64 v[142:143], v[177:178], s[8:9], v[156:157]
	;; [unrolled: 1-line block ×16, first 2 shown]
	s_mov_b32 s2, 0x372fe950
	s_mov_b32 s3, 0x3fd3c6ef
	v_add_f64 v[118:119], v[126:127], v[130:131]
	v_add_f64 v[116:117], v[124:125], v[128:129]
	;; [unrolled: 1-line block ×4, first 2 shown]
	v_fma_f64 v[148:149], v[166:167], s[2:3], v[140:141]
	v_fma_f64 v[164:165], v[166:167], s[2:3], v[142:143]
	;; [unrolled: 1-line block ×16, first 2 shown]
	ds_store_b128 v255, v[116:119]
	ds_store_b128 v255, v[156:159] offset:1456
	ds_store_b128 v255, v[148:151] offset:2912
	;; [unrolled: 1-line block ×9, first 2 shown]
	s_waitcnt lgkmcnt(0)
	s_waitcnt_vscnt null, 0x0
	s_barrier
	buffer_gl0_inv
	s_and_saveexec_b32 s2, vcc_lo
	s_cbranch_execz .LBB0_13
; %bb.12:
	scratch_load_b32 v120, off, off         ; 4-byte Folded Reload
	s_waitcnt vmcnt(0)
	v_add_co_u32 v120, s1, s14, v120
	s_delay_alu instid0(VALU_DEP_1) | instskip(NEXT) | instid1(VALU_DEP_2)
	v_add_co_ci_u32_e64 v121, null, s15, 0, s1
	v_add_co_u32 v122, s1, 0x3000, v120
	s_delay_alu instid0(VALU_DEP_1) | instskip(SKIP_2) | instid1(VALU_DEP_1)
	v_add_co_ci_u32_e64 v123, s1, 0, v121, s1
	global_load_b128 v[128:131], v[122:123], off offset:2272
	v_add_co_u32 v122, s1, 0x38e0, v120
	v_add_co_ci_u32_e64 v123, s1, 0, v121, s1
	s_clause 0x2
	global_load_b128 v[136:139], v[122:123], off offset:1120
	global_load_b128 v[169:172], v[122:123], off offset:2240
	;; [unrolled: 1-line block ×3, first 2 shown]
	v_add_co_u32 v122, s1, 0x4000, v120
	s_delay_alu instid0(VALU_DEP_1)
	v_add_co_ci_u32_e64 v123, s1, 0, v121, s1
	v_add_co_u32 v201, s1, 0x5000, v120
	s_clause 0x1
	global_load_b128 v[177:180], v[122:123], off offset:2656
	global_load_b128 v[181:184], v[122:123], off offset:3776
	ds_load_b128 v[185:188], v255
	ds_load_b128 v[189:192], v255 offset:1120
	v_add_co_ci_u32_e64 v202, s1, 0, v121, s1
	v_add_co_u32 v213, s1, 0x6000, v120
	s_delay_alu instid0(VALU_DEP_1)
	v_add_co_ci_u32_e64 v214, s1, 0, v121, s1
	s_waitcnt vmcnt(5) lgkmcnt(1)
	v_mul_f64 v[122:123], v[187:188], v[130:131]
	v_mul_f64 v[130:131], v[185:186], v[130:131]
	s_waitcnt vmcnt(4) lgkmcnt(0)
	v_mul_f64 v[193:194], v[191:192], v[138:139]
	s_delay_alu instid0(VALU_DEP_3) | instskip(SKIP_1) | instid1(VALU_DEP_4)
	v_fma_f64 v[185:186], v[185:186], v[128:129], -v[122:123]
	v_mul_f64 v[122:123], v[189:190], v[138:139]
	v_fma_f64 v[187:188], v[187:188], v[128:129], v[130:131]
	ds_load_b128 v[128:131], v255 offset:2240
	v_fma_f64 v[189:190], v[189:190], v[136:137], -v[193:194]
	v_fma_f64 v[191:192], v[191:192], v[136:137], v[122:123]
	ds_load_b128 v[136:139], v255 offset:3360
	s_waitcnt vmcnt(3) lgkmcnt(1)
	v_mul_f64 v[122:123], v[130:131], v[171:172]
	v_mul_f64 v[171:172], v[128:129], v[171:172]
	s_waitcnt vmcnt(2) lgkmcnt(0)
	v_mul_f64 v[193:194], v[138:139], v[175:176]
	s_delay_alu instid0(VALU_DEP_3) | instskip(SKIP_1) | instid1(VALU_DEP_4)
	v_fma_f64 v[128:129], v[128:129], v[169:170], -v[122:123]
	v_mul_f64 v[122:123], v[136:137], v[175:176]
	v_fma_f64 v[130:131], v[130:131], v[169:170], v[171:172]
	ds_load_b128 v[169:172], v255 offset:4480
	v_fma_f64 v[136:137], v[136:137], v[173:174], -v[193:194]
	v_fma_f64 v[138:139], v[138:139], v[173:174], v[122:123]
	ds_load_b128 v[173:176], v255 offset:5600
	s_waitcnt vmcnt(1) lgkmcnt(1)
	v_mul_f64 v[122:123], v[171:172], v[179:180]
	v_mul_f64 v[179:180], v[169:170], v[179:180]
	s_delay_alu instid0(VALU_DEP_2) | instskip(NEXT) | instid1(VALU_DEP_2)
	v_fma_f64 v[169:170], v[169:170], v[177:178], -v[122:123]
	v_fma_f64 v[171:172], v[171:172], v[177:178], v[179:180]
	s_waitcnt vmcnt(0) lgkmcnt(0)
	v_mul_f64 v[122:123], v[175:176], v[183:184]
	global_load_b128 v[177:180], v[201:202], off offset:800
	v_mul_f64 v[183:184], v[173:174], v[183:184]
	v_fma_f64 v[173:174], v[173:174], v[181:182], -v[122:123]
	s_delay_alu instid0(VALU_DEP_2)
	v_fma_f64 v[175:176], v[175:176], v[181:182], v[183:184]
	global_load_b128 v[181:184], v[201:202], off offset:1920
	ds_load_b128 v[193:196], v255 offset:6720
	ds_load_b128 v[197:200], v255 offset:7840
	s_waitcnt vmcnt(1) lgkmcnt(1)
	v_mul_f64 v[122:123], v[195:196], v[179:180]
	v_mul_f64 v[179:180], v[193:194], v[179:180]
	s_delay_alu instid0(VALU_DEP_2) | instskip(NEXT) | instid1(VALU_DEP_2)
	v_fma_f64 v[193:194], v[193:194], v[177:178], -v[122:123]
	v_fma_f64 v[195:196], v[195:196], v[177:178], v[179:180]
	s_waitcnt vmcnt(0) lgkmcnt(0)
	v_mul_f64 v[122:123], v[199:200], v[183:184]
	v_mul_f64 v[179:180], v[197:198], v[183:184]
	s_delay_alu instid0(VALU_DEP_2) | instskip(NEXT) | instid1(VALU_DEP_2)
	v_fma_f64 v[177:178], v[197:198], v[181:182], -v[122:123]
	v_fma_f64 v[179:180], v[199:200], v[181:182], v[179:180]
	s_clause 0x1
	global_load_b128 v[181:184], v[201:202], off offset:3040
	global_load_b128 v[120:123], v[213:214], off offset:64
	ds_load_b128 v[197:200], v255 offset:8960
	ds_load_b128 v[201:204], v255 offset:10080
	s_waitcnt vmcnt(1) lgkmcnt(1)
	v_mul_f64 v[205:206], v[199:200], v[183:184]
	v_mul_f64 v[183:184], v[197:198], v[183:184]
	s_delay_alu instid0(VALU_DEP_2) | instskip(NEXT) | instid1(VALU_DEP_2)
	v_fma_f64 v[197:198], v[197:198], v[181:182], -v[205:206]
	v_fma_f64 v[199:200], v[199:200], v[181:182], v[183:184]
	s_waitcnt vmcnt(0) lgkmcnt(0)
	v_mul_f64 v[181:182], v[203:204], v[122:123]
	v_mul_f64 v[122:123], v[201:202], v[122:123]
	s_delay_alu instid0(VALU_DEP_2) | instskip(NEXT) | instid1(VALU_DEP_2)
	v_fma_f64 v[181:182], v[201:202], v[120:121], -v[181:182]
	v_fma_f64 v[183:184], v[203:204], v[120:121], v[122:123]
	s_clause 0x1
	global_load_b128 v[120:123], v[213:214], off offset:1184
	global_load_b128 v[201:204], v[213:214], off offset:2304
	ds_load_b128 v[205:208], v255 offset:11200
	ds_load_b128 v[209:212], v255 offset:12320
	s_waitcnt vmcnt(1) lgkmcnt(1)
	v_mul_f64 v[215:216], v[207:208], v[122:123]
	v_mul_f64 v[122:123], v[205:206], v[122:123]
	s_delay_alu instid0(VALU_DEP_2) | instskip(NEXT) | instid1(VALU_DEP_2)
	v_fma_f64 v[205:206], v[205:206], v[120:121], -v[215:216]
	v_fma_f64 v[207:208], v[207:208], v[120:121], v[122:123]
	s_waitcnt vmcnt(0) lgkmcnt(0)
	v_mul_f64 v[120:121], v[211:212], v[203:204]
	v_mul_f64 v[122:123], v[209:210], v[203:204]
	s_delay_alu instid0(VALU_DEP_2) | instskip(NEXT) | instid1(VALU_DEP_2)
	v_fma_f64 v[120:121], v[209:210], v[201:202], -v[120:121]
	v_fma_f64 v[122:123], v[211:212], v[201:202], v[122:123]
	global_load_b128 v[201:204], v[213:214], off offset:3424
	ds_load_b128 v[209:212], v255 offset:13440
	s_waitcnt vmcnt(0) lgkmcnt(0)
	v_mul_f64 v[213:214], v[211:212], v[203:204]
	v_mul_f64 v[203:204], v[209:210], v[203:204]
	s_delay_alu instid0(VALU_DEP_2) | instskip(NEXT) | instid1(VALU_DEP_2)
	v_fma_f64 v[209:210], v[209:210], v[201:202], -v[213:214]
	v_fma_f64 v[211:212], v[211:212], v[201:202], v[203:204]
	ds_store_b128 v255, v[185:188]
	ds_store_b128 v255, v[189:192] offset:1120
	ds_store_b128 v255, v[128:131] offset:2240
	;; [unrolled: 1-line block ×12, first 2 shown]
.LBB0_13:
	s_or_b32 exec_lo, exec_lo, s2
	s_waitcnt lgkmcnt(0)
	s_barrier
	buffer_gl0_inv
	s_and_saveexec_b32 s1, vcc_lo
	s_cbranch_execz .LBB0_15
; %bb.14:
	ds_load_b128 v[116:119], v255
	ds_load_b128 v[148:151], v255 offset:1120
	ds_load_b128 v[152:155], v255 offset:2240
	;; [unrolled: 1-line block ×12, first 2 shown]
.LBB0_15:
	s_or_b32 exec_lo, exec_lo, s1
	s_waitcnt lgkmcnt(0)
	v_add_f64 v[187:188], v[150:151], -v[106:107]
	s_mov_b32 s20, 0x4267c47c
	s_mov_b32 s21, 0xbfddbe06
	v_add_f64 v[185:186], v[148:149], v[104:105]
	v_add_f64 v[177:178], v[154:155], -v[110:111]
	s_mov_b32 s2, 0xe00740e9
	s_mov_b32 s10, 0x42a4c3d2
	;; [unrolled: 1-line block ×4, first 2 shown]
	v_add_f64 v[169:170], v[152:153], v[108:109]
	v_add_f64 v[239:240], v[150:151], v[106:107]
	s_mov_b32 s8, 0x1ea71119
	s_mov_b32 s9, 0x3fe22d96
	v_add_f64 v[235:236], v[148:149], -v[104:105]
	v_add_f64 v[183:184], v[154:155], v[110:111]
	v_add_f64 v[173:174], v[152:153], -v[108:109]
	v_add_f64 v[199:200], v[162:163], -v[114:115]
	s_mov_b32 s18, 0x66966769
	s_mov_b32 s19, 0xbfefc445
	v_add_f64 v[179:180], v[160:161], v[112:113]
	v_add_f64 v[201:202], v[162:163], v[114:115]
	s_mov_b32 s16, 0xebaa3ed8
	s_mov_b32 s17, 0x3fbedb7d
	v_add_f64 v[189:190], v[160:161], -v[112:113]
	v_add_f64 v[221:222], v[166:167], -v[126:127]
	s_mov_b32 s24, 0x2ef20147
	s_mov_b32 s25, 0xbfedeba7
	v_add_f64 v[193:194], v[164:165], v[124:125]
	v_add_f64 v[219:220], v[166:167], v[126:127]
	s_mov_b32 s22, 0xb2365da1
	s_mov_b32 s23, 0xbfd6b1d8
	v_add_f64 v[207:208], v[164:165], -v[124:125]
	v_add_f64 v[227:228], v[158:159], -v[134:135]
	s_mov_b32 s34, 0x24c2f84
	s_mov_b32 s35, 0x3fe5384d
	;; [unrolled: 1-line block ×4, first 2 shown]
	v_add_f64 v[203:204], v[156:157], v[132:133]
	v_mul_f64 v[217:218], v[187:188], s[20:21]
	v_add_f64 v[225:226], v[158:159], v[134:135]
	s_mov_b32 s26, 0xd0032e0c
	s_mov_b32 s27, 0xbfe7f3cc
	v_mul_f64 v[171:172], v[177:178], s[10:11]
	v_add_f64 v[215:216], v[156:157], -v[132:133]
	v_add_f64 v[231:232], v[146:147], -v[142:143]
	s_mov_b32 s37, 0xbfcea1e5
	s_mov_b32 s36, 0x4bc48dbf
	v_add_f64 v[211:212], v[144:145], v[140:141]
	v_mul_f64 v[6:7], v[239:240], s[2:3]
	v_add_f64 v[229:230], v[146:147], v[142:143]
	s_mov_b32 s30, 0x93053d00
	s_mov_b32 s31, 0xbfef11f4
	v_mul_f64 v[181:182], v[183:184], s[8:9]
	v_add_f64 v[233:234], v[144:145], -v[140:141]
	v_mul_f64 v[191:192], v[199:200], s[18:19]
	v_mul_f64 v[243:244], v[187:188], s[10:11]
	;; [unrolled: 1-line block ×10, first 2 shown]
	s_mov_b32 s41, 0x3fefc445
	s_mov_b32 s40, s18
	v_mul_f64 v[241:242], v[219:220], s[22:23]
	s_mov_b32 s43, 0x3fedeba7
	s_mov_b32 s42, s24
	;; [unrolled: 1-line block ×3, first 2 shown]
	v_mul_f64 v[237:238], v[227:228], s[28:29]
	s_mov_b32 s38, s20
	v_mul_f64 v[247:248], v[187:188], s[18:19]
	v_mul_f64 v[249:250], v[239:240], s[16:17]
	v_fma_f64 v[120:121], v[185:186], s[2:3], -v[217:218]
	v_mul_f64 v[4:5], v[225:226], s[26:27]
	v_mul_f64 v[205:206], v[225:226], s[8:9]
	v_fma_f64 v[122:123], v[169:170], s[8:9], -v[171:172]
	v_mul_f64 v[0:1], v[231:232], s[36:37]
	v_mul_f64 v[2:3], v[229:230], s[30:31]
	v_fma_f64 v[128:129], v[173:174], s[10:11], v[181:182]
	v_fma_f64 v[130:131], v[169:170], s[22:23], -v[8:9]
	s_clause 0x1
	scratch_store_b64 off, v[10:11], off offset:92
	scratch_store_b64 off, v[138:139], off offset:100
	v_fma_f64 v[136:137], v[173:174], s[24:25], v[10:11]
	v_mul_f64 v[10:11], v[199:200], s[36:37]
	scratch_store_b64 off, v[195:196], off offset:156 ; 8-byte Folded Spill
	v_fma_f64 v[197:198], v[173:174], s[36:37], v[195:196]
	v_mul_f64 v[195:196], v[199:200], s[42:43]
	v_fma_f64 v[138:139], v[169:170], s[30:31], -v[138:139]
	v_add_f64 v[120:121], v[116:117], v[120:121]
	scratch_store_b64 off, v[195:196], off offset:172 ; 8-byte Folded Spill
	v_add_f64 v[120:121], v[122:123], v[120:121]
	v_fma_f64 v[122:123], v[235:236], s[20:21], v[6:7]
	s_delay_alu instid0(VALU_DEP_1) | instskip(NEXT) | instid1(VALU_DEP_1)
	v_add_f64 v[122:123], v[118:119], v[122:123]
	v_add_f64 v[122:123], v[128:129], v[122:123]
	v_fma_f64 v[128:129], v[179:180], s[16:17], -v[191:192]
	s_delay_alu instid0(VALU_DEP_1) | instskip(SKIP_1) | instid1(VALU_DEP_1)
	v_add_f64 v[120:121], v[128:129], v[120:121]
	v_fma_f64 v[128:129], v[189:190], s[18:19], v[209:210]
	v_add_f64 v[122:123], v[128:129], v[122:123]
	v_fma_f64 v[128:129], v[193:194], s[22:23], -v[213:214]
	s_delay_alu instid0(VALU_DEP_1) | instskip(SKIP_1) | instid1(VALU_DEP_1)
	v_add_f64 v[120:121], v[128:129], v[120:121]
	v_fma_f64 v[128:129], v[207:208], s[24:25], v[241:242]
	;; [unrolled: 5-line block ×4, first 2 shown]
	v_add_f64 v[122:123], v[128:129], v[122:123]
	v_fma_f64 v[128:129], v[185:186], s[8:9], -v[243:244]
	s_delay_alu instid0(VALU_DEP_1) | instskip(NEXT) | instid1(VALU_DEP_1)
	v_add_f64 v[128:129], v[116:117], v[128:129]
	v_add_f64 v[128:129], v[130:131], v[128:129]
	v_fma_f64 v[130:131], v[235:236], s[10:11], v[245:246]
	s_delay_alu instid0(VALU_DEP_1) | instskip(NEXT) | instid1(VALU_DEP_1)
	v_add_f64 v[130:131], v[118:119], v[130:131]
	v_add_f64 v[130:131], v[136:137], v[130:131]
	v_fma_f64 v[136:137], v[179:180], s[30:31], -v[10:11]
	s_delay_alu instid0(VALU_DEP_1) | instskip(SKIP_1) | instid1(VALU_DEP_1)
	v_add_f64 v[128:129], v[136:137], v[128:129]
	v_fma_f64 v[136:137], v[189:190], s[36:37], v[175:176]
	v_add_f64 v[130:131], v[136:137], v[130:131]
	v_mul_f64 v[136:137], v[221:222], s[34:35]
	scratch_store_b64 off, v[136:137], off offset:108 ; 8-byte Folded Spill
	v_fma_f64 v[136:137], v[193:194], s[26:27], -v[136:137]
	s_delay_alu instid0(VALU_DEP_1) | instskip(SKIP_3) | instid1(VALU_DEP_1)
	v_add_f64 v[128:129], v[136:137], v[128:129]
	v_mul_f64 v[136:137], v[219:220], s[26:27]
	scratch_store_b64 off, v[136:137], off offset:132 ; 8-byte Folded Spill
	v_fma_f64 v[136:137], v[207:208], s[34:35], v[136:137]
	v_add_f64 v[130:131], v[136:137], v[130:131]
	v_mul_f64 v[136:137], v[227:228], s[40:41]
	scratch_store_b64 off, v[136:137], off offset:116 ; 8-byte Folded Spill
	v_fma_f64 v[136:137], v[203:204], s[16:17], -v[136:137]
	s_delay_alu instid0(VALU_DEP_1) | instskip(SKIP_3) | instid1(VALU_DEP_1)
	v_add_f64 v[128:129], v[136:137], v[128:129]
	v_mul_f64 v[136:137], v[225:226], s[16:17]
	scratch_store_b64 off, v[136:137], off offset:140 ; 8-byte Folded Spill
	;; [unrolled: 9-line block ×3, first 2 shown]
	v_fma_f64 v[136:137], v[233:234], s[38:39], v[136:137]
	v_add_f64 v[130:131], v[136:137], v[130:131]
	v_fma_f64 v[136:137], v[185:186], s[16:17], -v[247:248]
	s_delay_alu instid0(VALU_DEP_1) | instskip(NEXT) | instid1(VALU_DEP_1)
	v_add_f64 v[136:137], v[116:117], v[136:137]
	v_add_f64 v[136:137], v[138:139], v[136:137]
	v_fma_f64 v[138:139], v[235:236], s[18:19], v[249:250]
	s_delay_alu instid0(VALU_DEP_1) | instskip(NEXT) | instid1(VALU_DEP_1)
	v_add_f64 v[138:139], v[118:119], v[138:139]
	v_add_f64 v[138:139], v[197:198], v[138:139]
	v_fma_f64 v[197:198], v[179:180], s[22:23], -v[195:196]
	v_mul_f64 v[195:196], v[201:202], s[22:23]
	s_delay_alu instid0(VALU_DEP_2) | instskip(NEXT) | instid1(VALU_DEP_2)
	v_add_f64 v[136:137], v[197:198], v[136:137]
	v_fma_f64 v[197:198], v[189:190], s[42:43], v[195:196]
	s_delay_alu instid0(VALU_DEP_1) | instskip(SKIP_3) | instid1(VALU_DEP_1)
	v_add_f64 v[138:139], v[197:198], v[138:139]
	v_mul_f64 v[197:198], v[221:222], s[38:39]
	scratch_store_b64 off, v[197:198], off offset:180 ; 8-byte Folded Spill
	v_fma_f64 v[197:198], v[193:194], s[2:3], -v[197:198]
	v_add_f64 v[136:137], v[197:198], v[136:137]
	v_mul_f64 v[197:198], v[219:220], s[2:3]
	scratch_store_b64 off, v[197:198], off offset:196 ; 8-byte Folded Spill
	v_fma_f64 v[197:198], v[207:208], s[38:39], v[197:198]
	s_delay_alu instid0(VALU_DEP_1) | instskip(SKIP_3) | instid1(VALU_DEP_1)
	v_add_f64 v[138:139], v[197:198], v[138:139]
	v_mul_f64 v[197:198], v[227:228], s[10:11]
	scratch_store_b64 off, v[197:198], off offset:188 ; 8-byte Folded Spill
	v_fma_f64 v[197:198], v[203:204], s[8:9], -v[197:198]
	v_add_f64 v[136:137], v[197:198], v[136:137]
	v_fma_f64 v[197:198], v[215:216], s[10:11], v[205:206]
	s_delay_alu instid0(VALU_DEP_1)
	v_add_f64 v[138:139], v[197:198], v[138:139]
	v_mul_f64 v[197:198], v[231:232], s[28:29]
	scratch_store_b64 off, v[197:198], off offset:164 ; 8-byte Folded Spill
	v_fma_f64 v[223:224], v[211:212], s[26:27], -v[197:198]
	v_mul_f64 v[197:198], v[229:230], s[26:27]
	s_waitcnt_vscnt null, 0x0
	s_barrier
	buffer_gl0_inv
	v_add_f64 v[136:137], v[223:224], v[136:137]
	v_fma_f64 v[252:253], v[233:234], s[28:29], v[197:198]
	s_delay_alu instid0(VALU_DEP_1)
	v_add_f64 v[138:139], v[252:253], v[138:139]
	s_and_saveexec_b32 s1, vcc_lo
	s_cbranch_execz .LBB0_17
; %bb.16:
	v_add_f64 v[148:149], v[116:117], v[148:149]
	v_add_f64 v[150:151], v[118:119], v[150:151]
	v_mul_f64 v[252:253], v[179:180], s[30:31]
	v_dual_mov_b32 v224, v210 :: v_dual_mov_b32 v223, v209
	v_dual_mov_b32 v210, v172 :: v_dual_mov_b32 v209, v171
	v_mul_f64 v[171:172], v[207:208], s[34:35]
	v_add_f64 v[148:149], v[148:149], v[152:153]
	v_add_f64 v[150:151], v[150:151], v[154:155]
	;; [unrolled: 1-line block ×3, first 2 shown]
	scratch_load_b64 v[10:11], off, off offset:108 ; 8-byte Folded Reload
	v_add_f64 v[148:149], v[148:149], v[160:161]
	v_add_f64 v[150:151], v[150:151], v[162:163]
	s_delay_alu instid0(VALU_DEP_2) | instskip(NEXT) | instid1(VALU_DEP_2)
	v_add_f64 v[148:149], v[148:149], v[164:165]
	v_add_f64 v[150:151], v[150:151], v[166:167]
	s_delay_alu instid0(VALU_DEP_2) | instskip(NEXT) | instid1(VALU_DEP_2)
	v_add_f64 v[148:149], v[148:149], v[156:157]
	v_add_f64 v[150:151], v[150:151], v[158:159]
	v_mul_f64 v[158:159], v[185:186], s[2:3]
	s_delay_alu instid0(VALU_DEP_3) | instskip(NEXT) | instid1(VALU_DEP_3)
	v_add_f64 v[144:145], v[148:149], v[144:145]
	v_add_f64 v[146:147], v[150:151], v[146:147]
	v_mul_f64 v[148:149], v[187:188], s[28:29]
	v_mul_f64 v[150:151], v[187:188], s[24:25]
	v_add_f64 v[158:159], v[158:159], v[217:218]
	v_dual_mov_b32 v218, v192 :: v_dual_mov_b32 v217, v191
	v_mul_f64 v[191:192], v[215:216], s[40:41]
	v_add_f64 v[140:141], v[144:145], v[140:141]
	v_add_f64 v[142:143], v[146:147], v[142:143]
	v_mul_f64 v[146:147], v[187:188], s[36:37]
	v_mul_f64 v[144:145], v[235:236], s[20:21]
	v_fma_f64 v[154:155], v[185:186], s[26:27], -v[148:149]
	v_fma_f64 v[148:149], v[185:186], s[26:27], v[148:149]
	v_fma_f64 v[156:157], v[185:186], s[22:23], -v[150:151]
	v_fma_f64 v[150:151], v[185:186], s[22:23], v[150:151]
	v_add_f64 v[158:159], v[116:117], v[158:159]
	s_mov_b32 s21, 0x3fea55e2
	s_mov_b32 s20, s10
	v_add_f64 v[132:133], v[140:141], v[132:133]
	v_add_f64 v[134:135], v[142:143], v[134:135]
	v_mul_f64 v[142:143], v[185:186], s[8:9]
	v_mul_f64 v[140:141], v[235:236], s[10:11]
	v_fma_f64 v[152:153], v[185:186], s[30:31], -v[146:147]
	v_fma_f64 v[146:147], v[185:186], s[30:31], v[146:147]
	v_add_f64 v[144:145], v[6:7], -v[144:145]
	v_add_f64 v[154:155], v[116:117], v[154:155]
	v_add_f64 v[148:149], v[116:117], v[148:149]
	;; [unrolled: 1-line block ×4, first 2 shown]
	scratch_load_b64 v[6:7], off, off offset:92 ; 8-byte Folded Reload
	v_add_f64 v[124:125], v[132:133], v[124:125]
	v_add_f64 v[126:127], v[134:135], v[126:127]
	v_mul_f64 v[134:135], v[185:186], s[16:17]
	v_mul_f64 v[132:133], v[235:236], s[18:19]
	v_add_f64 v[142:143], v[142:143], v[243:244]
	v_add_f64 v[140:141], v[245:246], -v[140:141]
	v_add_f64 v[152:153], v[116:117], v[152:153]
	v_add_f64 v[146:147], v[116:117], v[146:147]
	;; [unrolled: 1-line block ×3, first 2 shown]
	v_mul_f64 v[243:244], v[231:232], s[40:41]
	v_add_f64 v[112:113], v[124:125], v[112:113]
	v_add_f64 v[114:115], v[126:127], v[114:115]
	v_mul_f64 v[124:125], v[235:236], s[24:25]
	v_add_f64 v[134:135], v[134:135], v[247:248]
	v_add_f64 v[132:133], v[249:250], -v[132:133]
	v_mul_f64 v[247:248], v[233:234], s[24:25]
	v_mul_f64 v[249:250], v[231:232], s[24:25]
	v_add_f64 v[108:109], v[112:113], v[108:109]
	v_mul_f64 v[112:113], v[235:236], s[28:29]
	v_add_f64 v[110:111], v[114:115], v[110:111]
	v_fma_f64 v[126:127], v[239:240], s[22:23], v[124:125]
	v_fma_f64 v[124:125], v[239:240], s[22:23], -v[124:125]
	v_add_f64 v[134:135], v[116:117], v[134:135]
	v_add_f64 v[132:133], v[118:119], v[132:133]
	;; [unrolled: 1-line block ×3, first 2 shown]
	v_mul_f64 v[108:109], v[235:236], s[36:37]
	v_fma_f64 v[114:115], v[239:240], s[26:27], v[112:113]
	v_fma_f64 v[112:113], v[239:240], s[26:27], -v[112:113]
	v_add_f64 v[106:107], v[110:111], v[106:107]
	v_add_f64 v[166:167], v[118:119], v[126:127]
	v_add_f64 v[126:127], v[116:117], v[142:143]
	v_mul_f64 v[116:117], v[189:190], s[28:29]
	v_add_f64 v[185:186], v[118:119], v[124:125]
	v_add_f64 v[124:125], v[118:119], v[140:141]
	v_fma_f64 v[110:111], v[239:240], s[30:31], v[108:109]
	v_fma_f64 v[108:109], v[239:240], s[30:31], -v[108:109]
	v_add_f64 v[164:165], v[118:119], v[112:113]
	v_mul_f64 v[112:113], v[173:174], s[38:39]
	v_add_f64 v[162:163], v[118:119], v[114:115]
	v_mul_f64 v[114:115], v[177:178], s[38:39]
	v_mul_f64 v[239:240], v[233:234], s[40:41]
	v_add_f64 v[110:111], v[118:119], v[110:111]
	v_add_f64 v[160:161], v[118:119], v[108:109]
	v_fma_f64 v[118:119], v[201:202], s[26:27], v[116:117]
	v_fma_f64 v[108:109], v[183:184], s[2:3], v[112:113]
	v_fma_f64 v[112:113], v[183:184], s[2:3], -v[112:113]
	v_fma_f64 v[116:117], v[201:202], s[26:27], -v[116:117]
	s_delay_alu instid0(VALU_DEP_3) | instskip(SKIP_1) | instid1(VALU_DEP_4)
	v_add_f64 v[108:109], v[108:109], v[110:111]
	v_fma_f64 v[110:111], v[169:170], s[2:3], -v[114:115]
	v_add_f64 v[112:113], v[112:113], v[160:161]
	v_fma_f64 v[114:115], v[169:170], s[2:3], v[114:115]
	v_mul_f64 v[160:161], v[233:234], s[36:37]
	v_add_f64 v[108:109], v[118:119], v[108:109]
	v_mul_f64 v[118:119], v[199:200], s[28:29]
	v_add_f64 v[110:111], v[110:111], v[152:153]
	v_add_f64 v[114:115], v[114:115], v[146:147]
	;; [unrolled: 1-line block ×3, first 2 shown]
	v_mul_f64 v[146:147], v[177:178], s[40:41]
	v_fma_f64 v[140:141], v[179:180], s[26:27], -v[118:119]
	v_fma_f64 v[116:117], v[179:180], s[26:27], v[118:119]
	v_fma_f64 v[118:119], v[211:212], s[16:17], v[243:244]
	s_delay_alu instid0(VALU_DEP_3) | instskip(SKIP_1) | instid1(VALU_DEP_4)
	v_add_f64 v[110:111], v[140:141], v[110:111]
	v_mul_f64 v[140:141], v[207:208], s[20:21]
	v_add_f64 v[114:115], v[116:117], v[114:115]
	s_delay_alu instid0(VALU_DEP_2) | instskip(SKIP_1) | instid1(VALU_DEP_2)
	v_fma_f64 v[142:143], v[219:220], s[8:9], v[140:141]
	v_fma_f64 v[116:117], v[219:220], s[8:9], -v[140:141]
	v_add_f64 v[108:109], v[142:143], v[108:109]
	v_mul_f64 v[142:143], v[221:222], s[20:21]
	s_delay_alu instid0(VALU_DEP_3) | instskip(NEXT) | instid1(VALU_DEP_2)
	v_add_f64 v[112:113], v[116:117], v[112:113]
	v_fma_f64 v[144:145], v[193:194], s[8:9], -v[142:143]
	v_fma_f64 v[116:117], v[193:194], s[8:9], v[142:143]
	v_mul_f64 v[142:143], v[189:190], s[36:37]
	s_delay_alu instid0(VALU_DEP_3) | instskip(SKIP_1) | instid1(VALU_DEP_4)
	v_add_f64 v[110:111], v[144:145], v[110:111]
	v_mul_f64 v[144:145], v[215:216], s[24:25]
	v_add_f64 v[114:115], v[116:117], v[114:115]
	s_delay_alu instid0(VALU_DEP_4) | instskip(SKIP_1) | instid1(VALU_DEP_4)
	v_add_f64 v[142:143], v[175:176], -v[142:143]
	v_mul_f64 v[175:176], v[173:174], s[24:25]
	v_fma_f64 v[152:153], v[225:226], s[22:23], v[144:145]
	v_fma_f64 v[116:117], v[225:226], s[22:23], -v[144:145]
	v_mul_f64 v[144:145], v[173:174], s[40:41]
	s_waitcnt vmcnt(0)
	s_delay_alu instid0(VALU_DEP_4)
	v_add_f64 v[175:176], v[6:7], -v[175:176]
	scratch_load_b64 v[6:7], off, off offset:132 ; 8-byte Folded Reload
	v_add_f64 v[108:109], v[152:153], v[108:109]
	v_mul_f64 v[152:153], v[227:228], s[24:25]
	v_add_f64 v[112:113], v[116:117], v[112:113]
	v_add_f64 v[124:125], v[175:176], v[124:125]
	v_mul_f64 v[175:176], v[203:204], s[16:17]
	s_delay_alu instid0(VALU_DEP_4)
	v_fma_f64 v[116:117], v[203:204], s[22:23], v[152:153]
	v_fma_f64 v[235:236], v[203:204], s[22:23], -v[152:153]
	v_mul_f64 v[152:153], v[189:190], s[10:11]
	v_add_f64 v[124:125], v[142:143], v[124:125]
	v_mul_f64 v[142:143], v[233:234], s[38:39]
	v_add_f64 v[116:117], v[116:117], v[114:115]
	v_fma_f64 v[114:115], v[229:230], s[16:17], -v[239:240]
	v_fma_f64 v[140:141], v[201:202], s[8:9], v[152:153]
	v_add_f64 v[235:236], v[235:236], v[110:111]
	v_fma_f64 v[110:111], v[229:230], s[16:17], v[239:240]
	s_delay_alu instid0(VALU_DEP_4)
	v_add_f64 v[114:115], v[114:115], v[112:113]
	v_add_f64 v[112:113], v[118:119], v[116:117]
	v_fma_f64 v[116:117], v[183:184], s[16:17], v[144:145]
	v_fma_f64 v[118:119], v[169:170], s[16:17], -v[146:147]
	v_add_f64 v[110:111], v[110:111], v[108:109]
	v_fma_f64 v[108:109], v[211:212], s[16:17], -v[243:244]
	v_fma_f64 v[144:145], v[183:184], s[16:17], -v[144:145]
	v_fma_f64 v[146:147], v[169:170], s[16:17], v[146:147]
	v_add_f64 v[116:117], v[116:117], v[162:163]
	v_add_f64 v[118:119], v[118:119], v[154:155]
	v_mul_f64 v[154:155], v[199:200], s[10:11]
	v_add_f64 v[108:109], v[108:109], v[235:236]
	v_add_f64 v[144:145], v[144:145], v[164:165]
	v_add_f64 v[146:147], v[146:147], v[148:149]
	v_fma_f64 v[148:149], v[201:202], s[8:9], -v[152:153]
	v_fma_f64 v[152:153], v[211:212], s[22:23], v[249:250]
	v_add_f64 v[116:117], v[140:141], v[116:117]
	v_fma_f64 v[140:141], v[179:180], s[8:9], -v[154:155]
	s_delay_alu instid0(VALU_DEP_4) | instskip(SKIP_1) | instid1(VALU_DEP_3)
	v_add_f64 v[144:145], v[148:149], v[144:145]
	v_fma_f64 v[148:149], v[179:180], s[8:9], v[154:155]
	v_add_f64 v[118:119], v[140:141], v[118:119]
	v_mul_f64 v[140:141], v[173:174], s[36:37]
	s_mov_b32 s37, 0x3fcea1e5
	s_delay_alu instid0(SALU_CYCLE_1) | instskip(NEXT) | instid1(VALU_DEP_4)
	v_mul_f64 v[162:163], v[207:208], s[36:37]
	v_add_f64 v[146:147], v[148:149], v[146:147]
	s_delay_alu instid0(VALU_DEP_2) | instskip(SKIP_4) | instid1(VALU_DEP_1)
	v_fma_f64 v[235:236], v[219:220], s[30:31], v[162:163]
	v_fma_f64 v[148:149], v[219:220], s[30:31], -v[162:163]
	s_waitcnt vmcnt(0)
	v_add_f64 v[171:172], v[6:7], -v[171:172]
	v_dual_mov_b32 v7, v3 :: v_dual_mov_b32 v6, v2
	v_add_f64 v[160:161], v[6:7], -v[160:161]
	v_add_f64 v[116:117], v[235:236], v[116:117]
	v_mul_f64 v[235:236], v[221:222], s[36:37]
	v_add_f64 v[144:145], v[148:149], v[144:145]
	v_add_f64 v[124:125], v[171:172], v[124:125]
	v_mul_f64 v[171:172], v[211:212], s[2:3]
	s_delay_alu instid0(VALU_DEP_4) | instskip(SKIP_1) | instid1(VALU_DEP_2)
	v_fma_f64 v[239:240], v[193:194], s[30:31], -v[235:236]
	v_fma_f64 v[148:149], v[193:194], s[30:31], v[235:236]
	v_add_f64 v[118:119], v[239:240], v[118:119]
	v_mul_f64 v[239:240], v[215:216], s[38:39]
	s_delay_alu instid0(VALU_DEP_3) | instskip(NEXT) | instid1(VALU_DEP_2)
	v_add_f64 v[146:147], v[148:149], v[146:147]
	v_fma_f64 v[243:244], v[225:226], s[2:3], v[239:240]
	v_fma_f64 v[148:149], v[225:226], s[2:3], -v[239:240]
	s_delay_alu instid0(VALU_DEP_2) | instskip(SKIP_1) | instid1(VALU_DEP_3)
	v_add_f64 v[116:117], v[243:244], v[116:117]
	v_mul_f64 v[243:244], v[227:228], s[38:39]
	v_add_f64 v[144:145], v[148:149], v[144:145]
	s_delay_alu instid0(VALU_DEP_2) | instskip(SKIP_1) | instid1(VALU_DEP_2)
	v_fma_f64 v[245:246], v[203:204], s[2:3], -v[243:244]
	v_fma_f64 v[148:149], v[203:204], s[2:3], v[243:244]
	v_add_f64 v[245:246], v[245:246], v[118:119]
	v_fma_f64 v[118:119], v[229:230], s[22:23], v[247:248]
	s_delay_alu instid0(VALU_DEP_3) | instskip(SKIP_1) | instid1(VALU_DEP_3)
	v_add_f64 v[148:149], v[148:149], v[146:147]
	v_fma_f64 v[146:147], v[229:230], s[22:23], -v[247:248]
	v_add_f64 v[118:119], v[118:119], v[116:117]
	v_fma_f64 v[116:117], v[211:212], s[22:23], -v[249:250]
	s_delay_alu instid0(VALU_DEP_3) | instskip(SKIP_1) | instid1(VALU_DEP_3)
	v_add_f64 v[146:147], v[146:147], v[144:145]
	v_add_f64 v[144:145], v[152:153], v[148:149]
	;; [unrolled: 1-line block ×3, first 2 shown]
	v_mul_f64 v[245:246], v[169:170], s[22:23]
	s_delay_alu instid0(VALU_DEP_1)
	v_add_f64 v[245:246], v[245:246], v[8:9]
	v_dual_mov_b32 v9, v1 :: v_dual_mov_b32 v8, v0
	v_dual_mov_b32 v0, v100 :: v_dual_mov_b32 v1, v101
	;; [unrolled: 1-line block ×6, first 2 shown]
	v_mul_f64 v[181:182], v[193:194], s[26:27]
	v_add_f64 v[126:127], v[245:246], v[126:127]
	s_delay_alu instid0(VALU_DEP_2) | instskip(SKIP_2) | instid1(VALU_DEP_1)
	v_add_f64 v[181:182], v[181:182], v[10:11]
	scratch_load_b64 v[10:11], off, off offset:140 ; 8-byte Folded Reload
	v_add_f64 v[126:127], v[252:253], v[126:127]
	v_add_f64 v[126:127], v[181:182], v[126:127]
	v_mul_f64 v[181:182], v[207:208], s[38:39]
	s_waitcnt vmcnt(0)
	v_add_f64 v[191:192], v[10:11], -v[191:192]
	scratch_load_b64 v[10:11], off, off offset:116 ; 8-byte Folded Reload
	v_add_f64 v[124:125], v[191:192], v[124:125]
	v_mul_f64 v[191:192], v[193:194], s[2:3]
	s_waitcnt vmcnt(0)
	v_add_f64 v[175:176], v[175:176], v[10:11]
	scratch_load_b64 v[10:11], off, off offset:148 ; 8-byte Folded Reload
	v_add_f64 v[175:176], v[175:176], v[126:127]
	s_waitcnt vmcnt(0)
	v_add_f64 v[142:143], v[10:11], -v[142:143]
	scratch_load_b64 v[10:11], off, off offset:124 ; 8-byte Folded Reload
	v_add_f64 v[126:127], v[142:143], v[124:125]
	v_mul_f64 v[142:143], v[189:190], s[42:43]
	s_delay_alu instid0(VALU_DEP_1) | instskip(SKIP_1) | instid1(VALU_DEP_1)
	v_add_f64 v[142:143], v[195:196], -v[142:143]
	v_mul_f64 v[195:196], v[215:216], s[10:11]
	v_add_f64 v[195:196], v[205:206], -v[195:196]
	v_mul_f64 v[205:206], v[231:232], s[20:21]
	s_waitcnt vmcnt(0)
	v_add_f64 v[171:172], v[171:172], v[10:11]
	scratch_load_b64 v[10:11], off, off offset:156 ; 8-byte Folded Reload
	v_add_f64 v[124:125], v[171:172], v[175:176]
	v_mul_f64 v[171:172], v[179:180], s[22:23]
	v_mul_f64 v[175:176], v[169:170], s[30:31]
	s_waitcnt vmcnt(0)
	v_add_f64 v[140:141], v[10:11], -v[140:141]
	scratch_load_b64 v[10:11], off, off offset:172 ; 8-byte Folded Reload
	v_add_f64 v[132:133], v[140:141], v[132:133]
	v_mul_f64 v[140:141], v[203:204], s[8:9]
	s_delay_alu instid0(VALU_DEP_2) | instskip(SKIP_1) | instid1(VALU_DEP_1)
	v_add_f64 v[132:133], v[142:143], v[132:133]
	v_mul_f64 v[142:143], v[233:234], s[28:29]
	v_add_f64 v[142:143], v[197:198], -v[142:143]
	s_waitcnt vmcnt(0)
	v_add_f64 v[171:172], v[171:172], v[10:11]
	scratch_load_b64 v[10:11], off, off offset:100 ; 8-byte Folded Reload
	s_waitcnt vmcnt(0)
	v_add_f64 v[175:176], v[175:176], v[10:11]
	scratch_load_b64 v[10:11], off, off offset:196 ; 8-byte Folded Reload
	v_add_f64 v[134:135], v[175:176], v[134:135]
	v_mul_f64 v[175:176], v[177:178], s[34:35]
	s_delay_alu instid0(VALU_DEP_2) | instskip(SKIP_1) | instid1(VALU_DEP_3)
	v_add_f64 v[134:135], v[171:172], v[134:135]
	v_mul_f64 v[171:172], v[211:212], s[26:27]
	v_fma_f64 v[164:165], v[169:170], s[26:27], -v[175:176]
	s_delay_alu instid0(VALU_DEP_1) | instskip(SKIP_1) | instid1(VALU_DEP_1)
	v_add_f64 v[156:157], v[164:165], v[156:157]
	v_mul_f64 v[164:165], v[207:208], s[24:25]
	v_add_f64 v[164:165], v[241:242], -v[164:165]
	s_waitcnt vmcnt(0)
	v_add_f64 v[181:182], v[10:11], -v[181:182]
	scratch_load_b64 v[10:11], off, off offset:180 ; 8-byte Folded Reload
	v_add_f64 v[132:133], v[181:182], v[132:133]
	s_delay_alu instid0(VALU_DEP_1)
	v_add_f64 v[132:133], v[195:196], v[132:133]
	s_waitcnt vmcnt(0)
	v_add_f64 v[191:192], v[191:192], v[10:11]
	scratch_load_b64 v[10:11], off, off offset:188 ; 8-byte Folded Reload
	v_add_f64 v[134:135], v[191:192], v[134:135]
	s_waitcnt vmcnt(0)
	v_add_f64 v[140:141], v[140:141], v[10:11]
	scratch_load_b64 v[10:11], off, off offset:164 ; 8-byte Folded Reload
	v_add_f64 v[140:141], v[140:141], v[134:135]
	v_add_f64 v[134:135], v[142:143], v[132:133]
	v_fma_f64 v[142:143], v[169:170], s[26:27], v[175:176]
	s_delay_alu instid0(VALU_DEP_1) | instskip(SKIP_1) | instid1(VALU_DEP_1)
	v_add_f64 v[142:143], v[142:143], v[150:151]
	v_mul_f64 v[150:151], v[189:190], s[38:39]
	v_fma_f64 v[177:178], v[201:202], s[2:3], -v[150:151]
	v_fma_f64 v[150:151], v[201:202], s[2:3], v[150:151]
	s_waitcnt vmcnt(0)
	v_add_f64 v[171:172], v[171:172], v[10:11]
	s_delay_alu instid0(VALU_DEP_1) | instskip(SKIP_1) | instid1(VALU_DEP_1)
	v_add_f64 v[132:133], v[171:172], v[140:141]
	v_mul_f64 v[171:172], v[173:174], s[34:35]
	v_fma_f64 v[140:141], v[183:184], s[26:27], -v[171:172]
	v_fma_f64 v[148:149], v[183:184], s[26:27], v[171:172]
	s_delay_alu instid0(VALU_DEP_2) | instskip(NEXT) | instid1(VALU_DEP_2)
	v_add_f64 v[140:141], v[140:141], v[185:186]
	v_add_f64 v[148:149], v[148:149], v[166:167]
	v_mul_f64 v[166:167], v[193:194], s[22:23]
	s_delay_alu instid0(VALU_DEP_3) | instskip(SKIP_1) | instid1(VALU_DEP_4)
	v_add_f64 v[140:141], v[177:178], v[140:141]
	v_mul_f64 v[177:178], v[199:200], s[38:39]
	v_add_f64 v[148:149], v[150:151], v[148:149]
	v_mul_f64 v[199:200], v[233:234], s[20:21]
	v_add_f64 v[166:167], v[166:167], v[237:238]
	s_delay_alu instid0(VALU_DEP_4) | instskip(SKIP_1) | instid1(VALU_DEP_4)
	v_fma_f64 v[181:182], v[179:180], s[2:3], v[177:178]
	v_fma_f64 v[150:151], v[179:180], s[2:3], -v[177:178]
	v_fma_f64 v[162:163], v[229:230], s[8:9], v[199:200]
	s_delay_alu instid0(VALU_DEP_3) | instskip(SKIP_1) | instid1(VALU_DEP_4)
	v_add_f64 v[142:143], v[181:182], v[142:143]
	v_mul_f64 v[181:182], v[207:208], s[18:19]
	v_add_f64 v[150:151], v[150:151], v[156:157]
	v_mul_f64 v[156:157], v[189:190], s[18:19]
	s_delay_alu instid0(VALU_DEP_3) | instskip(SKIP_1) | instid1(VALU_DEP_3)
	v_fma_f64 v[185:186], v[219:220], s[16:17], -v[181:182]
	v_fma_f64 v[152:153], v[219:220], s[16:17], v[181:182]
	v_add_f64 v[156:157], v[223:224], -v[156:157]
	s_delay_alu instid0(VALU_DEP_3) | instskip(SKIP_1) | instid1(VALU_DEP_4)
	v_add_f64 v[140:141], v[185:186], v[140:141]
	v_mul_f64 v[185:186], v[221:222], s[18:19]
	v_add_f64 v[148:149], v[152:153], v[148:149]
	s_delay_alu instid0(VALU_DEP_2) | instskip(SKIP_1) | instid1(VALU_DEP_2)
	v_fma_f64 v[191:192], v[193:194], s[16:17], v[185:186]
	v_fma_f64 v[152:153], v[193:194], s[16:17], -v[185:186]
	v_add_f64 v[142:143], v[191:192], v[142:143]
	v_mul_f64 v[191:192], v[215:216], s[36:37]
	s_delay_alu instid0(VALU_DEP_3) | instskip(NEXT) | instid1(VALU_DEP_2)
	v_add_f64 v[150:151], v[152:153], v[150:151]
	v_fma_f64 v[195:196], v[225:226], s[30:31], -v[191:192]
	v_fma_f64 v[154:155], v[225:226], s[30:31], v[191:192]
	s_delay_alu instid0(VALU_DEP_2) | instskip(SKIP_1) | instid1(VALU_DEP_3)
	v_add_f64 v[140:141], v[195:196], v[140:141]
	v_mul_f64 v[195:196], v[227:228], s[36:37]
	v_add_f64 v[148:149], v[154:155], v[148:149]
	v_fma_f64 v[154:155], v[211:212], s[8:9], -v[205:206]
	s_delay_alu instid0(VALU_DEP_3) | instskip(SKIP_1) | instid1(VALU_DEP_2)
	v_fma_f64 v[152:153], v[203:204], s[30:31], -v[195:196]
	v_fma_f64 v[197:198], v[203:204], s[30:31], v[195:196]
	v_add_f64 v[152:153], v[152:153], v[150:151]
	v_add_f64 v[150:151], v[162:163], v[148:149]
	v_mul_f64 v[162:163], v[179:180], s[16:17]
	s_delay_alu instid0(VALU_DEP_4)
	v_add_f64 v[197:198], v[197:198], v[142:143]
	v_fma_f64 v[142:143], v[229:230], s[8:9], -v[199:200]
	v_add_f64 v[148:149], v[154:155], v[152:153]
	v_mul_f64 v[152:153], v[173:174], s[10:11]
	v_mul_f64 v[154:155], v[169:170], s[8:9]
	v_add_f64 v[162:163], v[162:163], v[217:218]
	v_add_f64 v[142:143], v[142:143], v[140:141]
	v_fma_f64 v[140:141], v[211:212], s[8:9], v[205:206]
	v_add_f64 v[152:153], v[213:214], -v[152:153]
	v_add_f64 v[154:155], v[154:155], v[209:210]
	s_delay_alu instid0(VALU_DEP_3) | instskip(NEXT) | instid1(VALU_DEP_3)
	v_add_f64 v[140:141], v[140:141], v[197:198]
	v_add_f64 v[152:153], v[152:153], v[187:188]
	s_delay_alu instid0(VALU_DEP_3) | instskip(SKIP_1) | instid1(VALU_DEP_3)
	v_add_f64 v[154:155], v[154:155], v[158:159]
	v_mul_f64 v[158:159], v[215:216], s[28:29]
	v_add_f64 v[152:153], v[156:157], v[152:153]
	s_delay_alu instid0(VALU_DEP_3) | instskip(SKIP_1) | instid1(VALU_DEP_4)
	v_add_f64 v[154:155], v[162:163], v[154:155]
	v_mul_f64 v[156:157], v[203:204], s[26:27]
	v_add_f64 v[158:159], v[4:5], -v[158:159]
	v_mul_f64 v[162:163], v[211:212], s[30:31]
	v_add_f64 v[152:153], v[164:165], v[152:153]
	v_add_f64 v[154:155], v[166:167], v[154:155]
	;; [unrolled: 1-line block ×3, first 2 shown]
	v_dual_mov_b32 v103, v3 :: v_dual_mov_b32 v102, v2
	v_add_f64 v[162:163], v[162:163], v[8:9]
	v_dual_mov_b32 v101, v1 :: v_dual_mov_b32 v100, v0
	v_add_f64 v[152:153], v[158:159], v[152:153]
	v_add_f64 v[156:157], v[156:157], v[154:155]
	s_delay_alu instid0(VALU_DEP_2) | instskip(NEXT) | instid1(VALU_DEP_2)
	v_add_f64 v[154:155], v[160:161], v[152:153]
	v_add_f64 v[152:153], v[162:163], v[156:157]
	s_clause 0x1
	scratch_load_b32 v156, off, off offset:40
	scratch_load_b32 v157, off, off offset:4
	s_waitcnt vmcnt(1)
	v_and_b32_e32 v156, 0xffff, v156
	s_waitcnt vmcnt(0)
	s_delay_alu instid0(VALU_DEP_1)
	v_lshl_add_u32 v156, v156, 4, v157
	ds_store_b128 v156, v[124:127] offset:32
	ds_store_b128 v156, v[132:135] offset:48
	;; [unrolled: 1-line block ×11, first 2 shown]
	ds_store_b128 v156, v[104:107]
	ds_store_b128 v156, v[120:123] offset:192
.LBB0_17:
	s_or_b32 exec_lo, exec_lo, s1
	s_waitcnt lgkmcnt(0)
	s_barrier
	buffer_gl0_inv
	ds_load_b128 v[104:107], v168 offset:7280
	ds_load_b128 v[108:111], v168 offset:8736
	;; [unrolled: 1-line block ×6, first 2 shown]
	s_waitcnt lgkmcnt(5)
	v_mul_f64 v[140:141], v[34:35], v[106:107]
	v_mul_f64 v[34:35], v[34:35], v[104:105]
	s_waitcnt lgkmcnt(4)
	v_mul_f64 v[142:143], v[38:39], v[110:111]
	s_waitcnt lgkmcnt(2)
	v_mul_f64 v[146:147], v[30:31], v[118:119]
	v_mul_f64 v[30:31], v[30:31], v[116:117]
	s_waitcnt lgkmcnt(1)
	v_mul_f64 v[148:149], v[26:27], v[126:127]
	v_mul_f64 v[38:39], v[38:39], v[108:109]
	v_mul_f64 v[144:145], v[42:43], v[114:115]
	v_mul_f64 v[42:43], v[42:43], v[112:113]
	v_mul_f64 v[26:27], v[26:27], v[124:125]
	v_fma_f64 v[140:141], v[32:33], v[104:105], v[140:141]
	v_fma_f64 v[150:151], v[32:33], v[106:107], -v[34:35]
	v_fma_f64 v[142:143], v[36:37], v[108:109], v[142:143]
	v_fma_f64 v[146:147], v[28:29], v[116:117], v[146:147]
	v_fma_f64 v[28:29], v[28:29], v[118:119], -v[30:31]
	v_fma_f64 v[30:31], v[24:25], v[124:125], v[148:149]
	v_fma_f64 v[152:153], v[36:37], v[110:111], -v[38:39]
	;; [unrolled: 2-line block ×3, first 2 shown]
	ds_load_b128 v[32:35], v168
	ds_load_b128 v[36:39], v168 offset:1456
	ds_load_b128 v[40:43], v168 offset:2912
	;; [unrolled: 1-line block ×3, first 2 shown]
	v_fma_f64 v[124:125], v[24:25], v[126:127], -v[26:27]
	s_waitcnt lgkmcnt(0)
	s_barrier
	buffer_gl0_inv
	v_add_f64 v[108:109], v[32:33], -v[140:141]
	v_add_f64 v[110:111], v[34:35], -v[150:151]
	;; [unrolled: 1-line block ×10, first 2 shown]
	v_fma_f64 v[124:125], v[32:33], 2.0, -v[108:109]
	v_fma_f64 v[126:127], v[34:35], 2.0, -v[110:111]
	v_fma_f64 v[36:37], v[36:37], 2.0, -v[112:113]
	v_fma_f64 v[104:105], v[104:105], 2.0, -v[24:25]
	v_fma_f64 v[106:107], v[106:107], 2.0, -v[26:27]
	v_fma_f64 v[32:33], v[132:133], 2.0, -v[28:29]
	scratch_load_b32 v132, off, off offset:32 ; 4-byte Folded Reload
	v_fma_f64 v[38:39], v[38:39], 2.0, -v[114:115]
	v_fma_f64 v[40:41], v[40:41], 2.0, -v[116:117]
	;; [unrolled: 1-line block ×4, first 2 shown]
	s_waitcnt vmcnt(0)
	ds_store_b128 v132, v[124:127]
	ds_store_b128 v132, v[108:111] offset:208
	scratch_load_b32 v108, off, off offset:28 ; 4-byte Folded Reload
	s_waitcnt vmcnt(0)
	ds_store_b128 v108, v[36:39]
	ds_store_b128 v108, v[112:115] offset:208
	scratch_load_b32 v36, off, off offset:24 ; 4-byte Folded Reload
	;; [unrolled: 4-line block ×4, first 2 shown]
	s_waitcnt vmcnt(0)
	ds_store_b128 v36, v[32:35]
	ds_store_b128 v36, v[28:31] offset:208
	s_waitcnt lgkmcnt(0)
	s_barrier
	buffer_gl0_inv
	ds_load_b128 v[36:39], v168
	ds_load_b128 v[116:119], v168 offset:2080
	ds_load_b128 v[112:115], v168 offset:4160
	;; [unrolled: 1-line block ×6, first 2 shown]
	s_and_saveexec_b32 s1, s0
	s_cbranch_execz .LBB0_19
; %bb.18:
	ds_load_b128 v[24:27], v168 offset:1456
	ds_load_b128 v[32:35], v168 offset:3536
	;; [unrolled: 1-line block ×7, first 2 shown]
.LBB0_19:
	s_or_b32 exec_lo, exec_lo, s1
	s_waitcnt lgkmcnt(5)
	v_mul_f64 v[132:133], v[58:59], v[118:119]
	v_mul_f64 v[58:59], v[58:59], v[116:117]
	s_waitcnt lgkmcnt(4)
	v_mul_f64 v[134:135], v[50:51], v[114:115]
	v_mul_f64 v[50:51], v[50:51], v[112:113]
	;; [unrolled: 3-line block ×3, first 2 shown]
	v_mul_f64 v[142:143], v[46:47], v[110:111]
	v_mul_f64 v[46:47], v[46:47], v[108:109]
	;; [unrolled: 1-line block ×6, first 2 shown]
	s_mov_b32 s8, 0x37e14327
	s_mov_b32 s16, 0xe976ee23
	;; [unrolled: 1-line block ×20, first 2 shown]
	s_barrier
	buffer_gl0_inv
	v_fma_f64 v[116:117], v[56:57], v[116:117], v[132:133]
	v_fma_f64 v[56:57], v[56:57], v[118:119], -v[58:59]
	v_fma_f64 v[58:59], v[48:49], v[112:113], v[134:135]
	v_fma_f64 v[48:49], v[48:49], v[114:115], -v[50:51]
	;; [unrolled: 2-line block ×6, first 2 shown]
	v_add_f64 v[60:61], v[116:117], v[50:51]
	v_add_f64 v[62:63], v[56:57], v[52:53]
	;; [unrolled: 1-line block ×4, first 2 shown]
	v_add_f64 v[54:55], v[58:59], -v[54:55]
	v_add_f64 v[44:45], v[48:49], -v[44:45]
	v_add_f64 v[48:49], v[46:47], v[40:41]
	v_add_f64 v[58:59], v[64:65], v[42:43]
	v_add_f64 v[40:41], v[40:41], -v[46:47]
	v_add_f64 v[42:43], v[42:43], -v[64:65]
	;; [unrolled: 1-line block ×4, first 2 shown]
	v_add_f64 v[52:53], v[66:67], v[60:61]
	v_add_f64 v[56:57], v[104:105], v[62:63]
	v_add_f64 v[64:65], v[60:61], -v[48:49]
	v_add_f64 v[106:107], v[62:63], -v[58:59]
	;; [unrolled: 1-line block ×6, first 2 shown]
	v_add_f64 v[54:55], v[40:41], v[54:55]
	v_add_f64 v[44:45], v[42:43], v[44:45]
	v_add_f64 v[116:117], v[46:47], -v[40:41]
	v_add_f64 v[118:119], v[50:51], -v[42:43]
	v_add_f64 v[52:53], v[48:49], v[52:53]
	v_add_f64 v[56:57], v[58:59], v[56:57]
	v_add_f64 v[48:49], v[48:49], -v[66:67]
	v_add_f64 v[58:59], v[58:59], -v[104:105]
	v_mul_f64 v[64:65], v[64:65], s[8:9]
	v_mul_f64 v[106:107], v[106:107], s[8:9]
	;; [unrolled: 1-line block ×6, first 2 shown]
	v_add_f64 v[46:47], v[54:55], v[46:47]
	v_add_f64 v[44:45], v[44:45], v[50:51]
	;; [unrolled: 1-line block ×4, first 2 shown]
	v_add_f64 v[36:37], v[66:67], -v[60:61]
	v_add_f64 v[38:39], v[104:105], -v[62:63]
	v_mul_f64 v[60:61], v[48:49], s[20:21]
	v_mul_f64 v[62:63], v[58:59], s[20:21]
	v_fma_f64 v[48:49], v[48:49], s[20:21], v[64:65]
	v_fma_f64 v[50:51], v[58:59], s[20:21], v[106:107]
	;; [unrolled: 1-line block ×4, first 2 shown]
	v_fma_f64 v[66:67], v[112:113], s[2:3], -v[108:109]
	v_fma_f64 v[104:105], v[114:115], s[2:3], -v[110:111]
	;; [unrolled: 1-line block ×4, first 2 shown]
	v_fma_f64 v[52:53], v[52:53], s[10:11], v[40:41]
	v_fma_f64 v[56:57], v[56:57], s[10:11], v[42:43]
	v_fma_f64 v[64:65], v[36:37], s[22:23], -v[64:65]
	v_fma_f64 v[106:107], v[38:39], s[22:23], -v[106:107]
	;; [unrolled: 1-line block ×4, first 2 shown]
	v_fma_f64 v[112:113], v[46:47], s[28:29], v[54:55]
	v_fma_f64 v[114:115], v[44:45], s[28:29], v[58:59]
	;; [unrolled: 1-line block ×6, first 2 shown]
	v_add_f64 v[104:105], v[48:49], v[52:53]
	v_add_f64 v[108:109], v[50:51], v[56:57]
	;; [unrolled: 1-line block ×7, first 2 shown]
	v_add_f64 v[46:47], v[108:109], -v[112:113]
	v_add_f64 v[48:49], v[66:67], v[64:65]
	v_add_f64 v[50:51], v[106:107], -v[62:63]
	v_add_f64 v[52:53], v[36:37], -v[60:61]
	v_add_f64 v[54:55], v[58:59], v[38:39]
	v_add_f64 v[56:57], v[60:61], v[36:37]
	v_add_f64 v[58:59], v[38:39], -v[58:59]
	v_add_f64 v[60:61], v[64:65], -v[66:67]
	v_add_f64 v[62:63], v[62:63], v[106:107]
	v_add_f64 v[64:65], v[104:105], -v[114:115]
	v_add_f64 v[66:67], v[112:113], v[108:109]
	v_add_nc_u32_e32 v36, 0x5b0, v255
	ds_store_b128 v251, v[40:43]
	ds_store_b128 v251, v[44:47] offset:416
	ds_store_b128 v251, v[48:51] offset:832
	ds_store_b128 v251, v[52:55] offset:1248
	ds_store_b128 v251, v[56:59] offset:1664
	ds_store_b128 v251, v[60:63] offset:2080
	ds_store_b128 v251, v[64:67] offset:2496
	s_and_saveexec_b32 s1, s0
	s_cbranch_execz .LBB0_21
; %bb.20:
	s_clause 0x2
	scratch_load_b128 v[8:11], off, off offset:76
	scratch_load_b128 v[4:7], off, off offset:60
	;; [unrolled: 1-line block ×3, first 2 shown]
	v_mul_f64 v[41:42], v[22:23], v[120:121]
	v_mul_f64 v[22:23], v[22:23], v[122:123]
	;; [unrolled: 1-line block ×6, first 2 shown]
	s_waitcnt vmcnt(2)
	v_mul_f64 v[37:38], v[10:11], v[100:101]
	s_waitcnt vmcnt(1)
	v_mul_f64 v[39:40], v[6:7], v[32:33]
	;; [unrolled: 2-line block ×3, first 2 shown]
	v_mul_f64 v[6:7], v[6:7], v[34:35]
	v_mul_f64 v[10:11], v[10:11], v[102:103]
	;; [unrolled: 1-line block ×3, first 2 shown]
	v_fma_f64 v[37:38], v[8:9], v[102:103], -v[37:38]
	v_fma_f64 v[34:35], v[4:5], v[34:35], -v[39:40]
	;; [unrolled: 1-line block ×4, first 2 shown]
	v_fma_f64 v[4:5], v[4:5], v[32:33], v[6:7]
	v_fma_f64 v[6:7], v[8:9], v[100:101], v[10:11]
	;; [unrolled: 1-line block ×6, first 2 shown]
	v_fma_f64 v[16:17], v[16:17], v[138:139], -v[18:19]
	v_fma_f64 v[12:13], v[12:13], v[130:131], -v[14:15]
	v_add_f64 v[14:15], v[34:35], v[37:38]
	v_add_f64 v[18:19], v[30:31], v[39:40]
	v_add_f64 v[20:21], v[4:5], v[6:7]
	v_add_f64 v[4:5], v[4:5], -v[6:7]
	v_add_f64 v[22:23], v[0:1], v[2:3]
	v_add_f64 v[0:1], v[0:1], -v[2:3]
	v_add_f64 v[28:29], v[8:9], -v[10:11]
	v_add_f64 v[8:9], v[10:11], v[8:9]
	v_add_f64 v[2:3], v[16:17], v[12:13]
	v_add_f64 v[10:11], v[12:13], -v[16:17]
	v_add_f64 v[12:13], v[30:31], -v[39:40]
	v_add_f64 v[16:17], v[34:35], -v[37:38]
	v_add_f64 v[6:7], v[18:19], v[14:15]
	v_add_f64 v[30:31], v[22:23], v[20:21]
	v_add_f64 v[39:40], v[0:1], -v[4:5]
	v_add_f64 v[32:33], v[28:29], -v[0:1]
	;; [unrolled: 1-line block ×8, first 2 shown]
	v_add_f64 v[28:29], v[28:29], v[0:1]
	v_add_f64 v[14:15], v[18:19], -v[14:15]
	v_add_f64 v[12:13], v[10:11], v[12:13]
	v_add_f64 v[10:11], v[16:17], -v[10:11]
	v_add_f64 v[20:21], v[22:23], -v[20:21]
	v_add_f64 v[6:7], v[2:3], v[6:7]
	v_add_f64 v[30:31], v[8:9], v[30:31]
	v_add_f64 v[8:9], v[8:9], -v[22:23]
	v_mul_f64 v[49:50], v[39:40], s[2:3]
	v_mul_f64 v[37:38], v[37:38], s[8:9]
	v_mul_f64 v[34:35], v[34:35], s[8:9]
	v_mul_f64 v[18:19], v[41:42], s[20:21]
	v_mul_f64 v[32:33], v[32:33], s[16:17]
	v_add_f64 v[4:5], v[28:29], v[4:5]
	v_add_f64 v[12:13], v[12:13], v[16:17]
	;; [unrolled: 1-line block ×3, first 2 shown]
	v_mul_f64 v[26:27], v[43:44], s[16:17]
	v_mul_f64 v[43:44], v[45:46], s[2:3]
	v_add_f64 v[0:1], v[24:25], v[30:31]
	v_mul_f64 v[22:23], v[8:9], s[20:21]
	v_fma_f64 v[28:29], v[47:48], s[26:27], -v[49:50]
	v_fma_f64 v[8:9], v[8:9], s[20:21], v[37:38]
	v_fma_f64 v[24:25], v[41:42], s[20:21], v[34:35]
	v_fma_f64 v[34:35], v[14:15], s[22:23], -v[34:35]
	v_fma_f64 v[14:15], v[14:15], s[18:19], -v[18:19]
	;; [unrolled: 1-line block ×3, first 2 shown]
	v_fma_f64 v[16:17], v[47:48], s[24:25], v[32:33]
	v_fma_f64 v[32:33], v[39:40], s[2:3], -v[32:33]
	v_fma_f64 v[6:7], v[6:7], s[10:11], v[2:3]
	v_fma_f64 v[18:19], v[10:11], s[24:25], v[26:27]
	v_fma_f64 v[10:11], v[10:11], s[26:27], -v[43:44]
	v_fma_f64 v[26:27], v[45:46], s[2:3], -v[26:27]
	v_fma_f64 v[30:31], v[30:31], s[10:11], v[0:1]
	v_fma_f64 v[20:21], v[20:21], s[18:19], -v[22:23]
	v_fma_f64 v[22:23], v[4:5], s[28:29], v[28:29]
	v_fma_f64 v[16:17], v[4:5], s[28:29], v[16:17]
	;; [unrolled: 1-line block ×3, first 2 shown]
	v_add_f64 v[28:29], v[34:35], v[6:7]
	v_add_f64 v[24:25], v[24:25], v[6:7]
	v_fma_f64 v[39:40], v[12:13], s[28:29], v[10:11]
	v_fma_f64 v[34:35], v[12:13], s[28:29], v[18:19]
	v_add_f64 v[41:42], v[8:9], v[30:31]
	v_add_f64 v[8:9], v[37:38], v[30:31]
	v_add_f64 v[32:33], v[14:15], v[6:7]
	v_fma_f64 v[12:13], v[12:13], s[28:29], v[26:27]
	v_add_f64 v[30:31], v[20:21], v[30:31]
	v_add_f64 v[10:11], v[22:23], v[28:29]
	v_add_f64 v[22:23], v[28:29], -v[22:23]
	s_clause 0x1
	scratch_load_b32 v28, off, off offset:8
	scratch_load_b32 v29, off, off offset:12
	v_add_f64 v[6:7], v[16:17], v[24:25]
	v_add_f64 v[26:27], v[24:25], -v[16:17]
	v_add_f64 v[24:25], v[34:35], v[41:42]
	v_add_f64 v[20:21], v[39:40], v[8:9]
	;; [unrolled: 1-line block ×3, first 2 shown]
	v_add_f64 v[16:17], v[30:31], -v[12:13]
	v_add_f64 v[14:15], v[32:33], -v[4:5]
	v_add_f64 v[12:13], v[12:13], v[30:31]
	v_add_f64 v[8:9], v[8:9], -v[39:40]
	v_add_f64 v[4:5], v[41:42], -v[34:35]
	s_waitcnt vmcnt(1)
	v_and_b32_e32 v28, 0xffff, v28
	s_delay_alu instid0(VALU_DEP_1) | instskip(SKIP_1) | instid1(VALU_DEP_1)
	v_mul_u32_u24_e32 v28, 0xb6, v28
	s_waitcnt vmcnt(0)
	v_add_nc_u32_e32 v28, v28, v29
	scratch_load_b32 v29, off, off offset:4 ; 4-byte Folded Reload
	s_waitcnt vmcnt(0)
	v_lshl_add_u32 v28, v28, 4, v29
	ds_store_b128 v28, v[0:3]
	ds_store_b128 v28, v[24:27] offset:416
	ds_store_b128 v28, v[20:23] offset:832
	ds_store_b128 v28, v[16:19] offset:1248
	ds_store_b128 v28, v[12:15] offset:1664
	ds_store_b128 v28, v[8:11] offset:2080
	ds_store_b128 v28, v[4:7] offset:2496
.LBB0_21:
	s_or_b32 exec_lo, exec_lo, s1
	s_waitcnt lgkmcnt(0)
	s_barrier
	buffer_gl0_inv
	ds_load_b128 v[0:3], v168 offset:2912
	ds_load_b128 v[4:7], v168 offset:5824
	;; [unrolled: 1-line block ×8, first 2 shown]
	s_mov_b32 s0, 0x134454ff
	s_mov_b32 s1, 0xbfee6f0e
	;; [unrolled: 1-line block ×4, first 2 shown]
	s_waitcnt lgkmcnt(7)
	v_mul_f64 v[39:40], v[82:83], v[0:1]
	s_waitcnt lgkmcnt(6)
	v_mul_f64 v[34:35], v[70:71], v[6:7]
	;; [unrolled: 2-line block ×3, first 2 shown]
	v_mul_f64 v[43:44], v[70:71], v[4:5]
	v_mul_f64 v[45:46], v[78:79], v[8:9]
	v_mul_f64 v[32:33], v[82:83], v[2:3]
	s_waitcnt lgkmcnt(4)
	v_mul_f64 v[41:42], v[74:75], v[14:15]
	v_mul_f64 v[47:48], v[74:75], v[12:13]
	s_waitcnt lgkmcnt(2)
	v_mul_f64 v[51:52], v[98:99], v[22:23]
	s_waitcnt lgkmcnt(1)
	v_mul_f64 v[53:54], v[94:95], v[26:27]
	v_mul_f64 v[55:56], v[98:99], v[20:21]
	;; [unrolled: 1-line block ×4, first 2 shown]
	s_waitcnt lgkmcnt(0)
	v_mul_f64 v[57:58], v[90:91], v[30:31]
	v_mul_f64 v[61:62], v[86:87], v[16:17]
	;; [unrolled: 1-line block ×3, first 2 shown]
	v_fma_f64 v[34:35], v[68:69], v[4:5], v[34:35]
	v_fma_f64 v[8:9], v[76:77], v[8:9], v[37:38]
	v_fma_f64 v[37:38], v[80:81], v[2:3], -v[39:40]
	v_fma_f64 v[39:40], v[68:69], v[6:7], -v[43:44]
	;; [unrolled: 1-line block ×3, first 2 shown]
	v_fma_f64 v[32:33], v[80:81], v[0:1], v[32:33]
	v_fma_f64 v[12:13], v[72:73], v[12:13], v[41:42]
	v_fma_f64 v[14:15], v[72:73], v[14:15], -v[47:48]
	v_fma_f64 v[20:21], v[96:97], v[20:21], v[51:52]
	v_fma_f64 v[24:25], v[92:93], v[24:25], v[53:54]
	v_fma_f64 v[22:23], v[96:97], v[22:23], -v[55:56]
	v_fma_f64 v[26:27], v[92:93], v[26:27], -v[59:60]
	v_fma_f64 v[16:17], v[84:85], v[16:17], v[49:50]
	v_fma_f64 v[28:29], v[88:89], v[28:29], v[57:58]
	v_fma_f64 v[18:19], v[84:85], v[18:19], -v[61:62]
	v_fma_f64 v[30:31], v[88:89], v[30:31], -v[63:64]
	ds_load_b128 v[0:3], v168
	ds_load_b128 v[4:7], v168 offset:1456
	v_add_f64 v[41:42], v[34:35], v[8:9]
	s_waitcnt lgkmcnt(1)
	v_add_f64 v[63:64], v[2:3], v[37:38]
	v_add_f64 v[79:80], v[37:38], -v[39:40]
	v_add_f64 v[45:46], v[39:40], v[10:11]
	v_add_f64 v[57:58], v[0:1], v[32:33]
	v_add_f64 v[43:44], v[32:33], v[12:13]
	v_add_f64 v[47:48], v[37:38], v[14:15]
	v_add_f64 v[59:60], v[37:38], -v[14:15]
	v_add_f64 v[49:50], v[20:21], v[24:25]
	v_add_f64 v[69:70], v[32:33], -v[12:13]
	v_add_f64 v[53:54], v[22:23], v[26:27]
	s_waitcnt lgkmcnt(0)
	v_add_f64 v[65:66], v[4:5], v[16:17]
	v_add_f64 v[51:52], v[16:17], v[28:29]
	;; [unrolled: 1-line block ×4, first 2 shown]
	v_add_f64 v[61:62], v[39:40], -v[10:11]
	v_add_f64 v[71:72], v[18:19], -v[30:31]
	;; [unrolled: 1-line block ×16, first 2 shown]
	v_fma_f64 v[41:42], v[41:42], -0.5, v[0:1]
	v_add_f64 v[39:40], v[63:64], v[39:40]
	v_fma_f64 v[45:46], v[45:46], -0.5, v[2:3]
	v_fma_f64 v[0:1], v[43:44], -0.5, v[0:1]
	v_add_f64 v[43:44], v[34:35], -v[8:9]
	v_fma_f64 v[2:3], v[47:48], -0.5, v[2:3]
	v_fma_f64 v[49:50], v[49:50], -0.5, v[4:5]
	v_add_f64 v[47:48], v[22:23], -v[26:27]
	;; [unrolled: 3-line block ×3, first 2 shown]
	v_fma_f64 v[6:7], v[55:56], -0.5, v[6:7]
	v_add_f64 v[55:56], v[32:33], -v[34:35]
	v_add_f64 v[32:33], v[34:35], -v[32:33]
	v_add_f64 v[34:35], v[57:58], v[34:35]
	v_add_f64 v[20:21], v[65:66], v[20:21]
	;; [unrolled: 1-line block ×5, first 2 shown]
	v_fma_f64 v[57:58], v[59:60], s[0:1], v[41:42]
	v_fma_f64 v[41:42], v[59:60], s[2:3], v[41:42]
	v_add_f64 v[10:11], v[39:40], v[10:11]
	v_fma_f64 v[65:66], v[69:70], s[2:3], v[45:46]
	v_fma_f64 v[45:46], v[69:70], s[0:1], v[45:46]
	;; [unrolled: 1-line block ×14, first 2 shown]
	s_mov_b32 s0, 0x4755a5e
	s_mov_b32 s1, 0xbfe2cf23
	s_mov_b32 s3, 0x3fe2cf23
	s_mov_b32 s2, s0
	v_add_f64 v[8:9], v[34:35], v[8:9]
	v_add_f64 v[55:56], v[55:56], v[75:76]
	;; [unrolled: 1-line block ×9, first 2 shown]
	v_fma_f64 v[20:21], v[61:62], s[0:1], v[57:58]
	v_fma_f64 v[22:23], v[61:62], s[2:3], v[41:42]
	;; [unrolled: 1-line block ×16, first 2 shown]
	s_mov_b32 s0, 0x372fe950
	s_mov_b32 s1, 0x3fd3c6ef
	v_add_f64 v[2:3], v[10:11], v[14:15]
	v_add_f64 v[0:1], v[8:9], v[12:13]
	;; [unrolled: 1-line block ×4, first 2 shown]
	v_fma_f64 v[8:9], v[55:56], s[0:1], v[20:21]
	v_fma_f64 v[12:13], v[55:56], s[0:1], v[22:23]
	;; [unrolled: 1-line block ×16, first 2 shown]
	ds_store_b128 v255, v[0:3]
	ds_store_b128 v255, v[4:7] offset:1456
	ds_store_b128 v255, v[8:11] offset:2912
	;; [unrolled: 1-line block ×9, first 2 shown]
	s_waitcnt lgkmcnt(0)
	s_barrier
	buffer_gl0_inv
	s_and_b32 exec_lo, exec_lo, vcc_lo
	s_cbranch_execz .LBB0_23
; %bb.22:
	scratch_load_b32 v12, off, off          ; 4-byte Folded Reload
	v_mad_u64_u32 v[80:81], null, s6, v254, 0
	s_mul_hi_u32 s1, s4, 0x460
	s_mul_i32 s2, s4, 0x460
	s_waitcnt vmcnt(0)
	v_add_co_u32 v36, s0, s14, v12
	s_delay_alu instid0(VALU_DEP_1)
	v_add_co_ci_u32_e64 v37, null, s15, 0, s0
	s_clause 0x3
	global_load_b128 v[0:3], v12, s[14:15]
	global_load_b128 v[4:7], v12, s[14:15] offset:1120
	global_load_b128 v[8:11], v12, s[14:15] offset:2240
	;; [unrolled: 1-line block ×3, first 2 shown]
	v_add_co_u32 v28, vcc_lo, 0x1000, v36
	v_add_co_ci_u32_e32 v29, vcc_lo, 0, v37, vcc_lo
	v_add_co_u32 v40, vcc_lo, 0x2000, v36
	v_add_co_ci_u32_e32 v41, vcc_lo, 0, v37, vcc_lo
	;; [unrolled: 2-line block ×3, first 2 shown]
	s_clause 0x7
	global_load_b128 v[16:19], v[28:29], off offset:384
	global_load_b128 v[20:23], v[28:29], off offset:1504
	;; [unrolled: 1-line block ×8, first 2 shown]
	scratch_load_b32 v58, off, off offset:36 ; 4-byte Folded Reload
	ds_load_b128 v[48:51], v255
	ds_load_b128 v[52:55], v255 offset:1120
	s_mul_i32 s0, s5, 0x460
	s_delay_alu instid0(SALU_CYCLE_1)
	s_add_i32 s3, s1, s0
	s_mov_b32 s0, 0x12012012
	s_mov_b32 s1, 0x3f520120
	s_waitcnt vmcnt(11) lgkmcnt(0)
	v_mul_f64 v[102:103], v[54:55], v[6:7]
	v_mul_f64 v[6:7], v[52:53], v[6:7]
	s_waitcnt vmcnt(0)
	v_mad_u64_u32 v[98:99], null, s4, v58, 0
	s_delay_alu instid0(VALU_DEP_1) | instskip(NEXT) | instid1(VALU_DEP_1)
	v_dual_mov_b32 v56, v81 :: v_dual_mov_b32 v57, v99
	v_mad_u64_u32 v[64:65], null, s7, v254, v[56:57]
	v_mad_u64_u32 v[82:83], null, s5, v58, v[57:58]
	ds_load_b128 v[56:59], v255 offset:2240
	ds_load_b128 v[60:63], v255 offset:3360
	v_mov_b32_e32 v81, v64
	ds_load_b128 v[64:67], v255 offset:4480
	ds_load_b128 v[68:71], v255 offset:5600
	;; [unrolled: 1-line block ×4, first 2 shown]
	v_mov_b32_e32 v99, v82
	v_fma_f64 v[6:7], v[4:5], v[54:55], -v[6:7]
	v_lshlrev_b64 v[100:101], 4, v[80:81]
	ds_load_b128 v[80:83], v255 offset:8960
	ds_load_b128 v[84:87], v255 offset:10080
	ds_load_b128 v[88:91], v255 offset:11200
	ds_load_b128 v[92:95], v255 offset:12320
	v_lshlrev_b64 v[98:99], 4, v[98:99]
	v_add_co_u32 v124, vcc_lo, s12, v100
	v_add_co_ci_u32_e32 v125, vcc_lo, s13, v101, vcc_lo
	v_mul_f64 v[100:101], v[50:51], v[2:3]
	v_mul_f64 v[2:3], v[48:49], v[2:3]
	s_waitcnt lgkmcnt(9)
	v_mul_f64 v[104:105], v[58:59], v[10:11]
	v_mul_f64 v[10:11], v[56:57], v[10:11]
	s_waitcnt lgkmcnt(8)
	;; [unrolled: 3-line block ×10, first 2 shown]
	v_mul_f64 v[122:123], v[94:95], v[46:47]
	v_mul_f64 v[46:47], v[92:93], v[46:47]
	v_add_co_u32 v98, vcc_lo, v124, v98
	v_add_co_ci_u32_e32 v99, vcc_lo, v125, v99, vcc_lo
	v_mul_f64 v[6:7], v[6:7], s[0:1]
	s_delay_alu instid0(VALU_DEP_3) | instskip(NEXT) | instid1(VALU_DEP_3)
	v_add_co_u32 v124, vcc_lo, v98, s2
	v_add_co_ci_u32_e32 v125, vcc_lo, s3, v99, vcc_lo
	s_delay_alu instid0(VALU_DEP_2) | instskip(NEXT) | instid1(VALU_DEP_2)
	v_add_co_u32 v126, vcc_lo, v124, s2
	v_add_co_ci_u32_e32 v127, vcc_lo, s3, v125, vcc_lo
	v_fma_f64 v[48:49], v[48:49], v[0:1], v[100:101]
	v_fma_f64 v[2:3], v[0:1], v[50:51], -v[2:3]
	v_fma_f64 v[50:51], v[52:53], v[4:5], v[102:103]
	v_fma_f64 v[52:53], v[56:57], v[8:9], v[104:105]
	v_fma_f64 v[10:11], v[8:9], v[58:59], -v[10:11]
	v_fma_f64 v[54:55], v[60:61], v[12:13], v[106:107]
	v_fma_f64 v[14:15], v[12:13], v[62:63], -v[14:15]
	;; [unrolled: 2-line block ×10, first 2 shown]
	v_add_co_u32 v72, vcc_lo, v126, s2
	v_add_co_ci_u32_e32 v73, vcc_lo, s3, v127, vcc_lo
	s_delay_alu instid0(VALU_DEP_2) | instskip(NEXT) | instid1(VALU_DEP_2)
	v_add_co_u32 v74, vcc_lo, v72, s2
	v_add_co_ci_u32_e32 v75, vcc_lo, s3, v73, vcc_lo
	s_delay_alu instid0(VALU_DEP_2) | instskip(NEXT) | instid1(VALU_DEP_2)
	v_add_co_u32 v76, vcc_lo, v74, s2
	v_add_co_ci_u32_e32 v77, vcc_lo, s3, v75, vcc_lo
	v_mul_f64 v[0:1], v[48:49], s[0:1]
	v_mul_f64 v[2:3], v[2:3], s[0:1]
	;; [unrolled: 1-line block ×23, first 2 shown]
	v_add_co_u32 v48, vcc_lo, v76, s2
	v_add_co_ci_u32_e32 v49, vcc_lo, s3, v77, vcc_lo
	s_delay_alu instid0(VALU_DEP_2) | instskip(NEXT) | instid1(VALU_DEP_2)
	v_add_co_u32 v50, vcc_lo, v48, s2
	v_add_co_ci_u32_e32 v51, vcc_lo, s3, v49, vcc_lo
	s_delay_alu instid0(VALU_DEP_2) | instskip(NEXT) | instid1(VALU_DEP_2)
	;; [unrolled: 3-line block ×5, first 2 shown]
	v_add_co_u32 v58, vcc_lo, v56, s2
	v_add_co_ci_u32_e32 v59, vcc_lo, s3, v57, vcc_lo
	s_clause 0x4
	global_store_b128 v[98:99], v[0:3], off
	global_store_b128 v[124:125], v[4:7], off
	;; [unrolled: 1-line block ×12, first 2 shown]
	global_load_b128 v[0:3], v[96:97], off offset:1152
	ds_load_b128 v[4:7], v255 offset:13440
	s_waitcnt vmcnt(0) lgkmcnt(0)
	v_mul_f64 v[8:9], v[6:7], v[2:3]
	v_mul_f64 v[2:3], v[4:5], v[2:3]
	s_delay_alu instid0(VALU_DEP_2) | instskip(NEXT) | instid1(VALU_DEP_2)
	v_fma_f64 v[4:5], v[4:5], v[0:1], v[8:9]
	v_fma_f64 v[2:3], v[0:1], v[6:7], -v[2:3]
	s_delay_alu instid0(VALU_DEP_2) | instskip(NEXT) | instid1(VALU_DEP_2)
	v_mul_f64 v[0:1], v[4:5], s[0:1]
	v_mul_f64 v[2:3], v[2:3], s[0:1]
	v_add_co_u32 v4, vcc_lo, v58, s2
	v_add_co_ci_u32_e32 v5, vcc_lo, s3, v59, vcc_lo
	global_store_b128 v[4:5], v[0:3], off
.LBB0_23:
	s_nop 0
	s_sendmsg sendmsg(MSG_DEALLOC_VGPRS)
	s_endpgm
	.section	.rodata,"a",@progbits
	.p2align	6, 0x0
	.amdhsa_kernel bluestein_single_back_len910_dim1_dp_op_CI_CI
		.amdhsa_group_segment_fixed_size 29120
		.amdhsa_private_segment_fixed_size 208
		.amdhsa_kernarg_size 104
		.amdhsa_user_sgpr_count 15
		.amdhsa_user_sgpr_dispatch_ptr 0
		.amdhsa_user_sgpr_queue_ptr 0
		.amdhsa_user_sgpr_kernarg_segment_ptr 1
		.amdhsa_user_sgpr_dispatch_id 0
		.amdhsa_user_sgpr_private_segment_size 0
		.amdhsa_wavefront_size32 1
		.amdhsa_uses_dynamic_stack 0
		.amdhsa_enable_private_segment 1
		.amdhsa_system_sgpr_workgroup_id_x 1
		.amdhsa_system_sgpr_workgroup_id_y 0
		.amdhsa_system_sgpr_workgroup_id_z 0
		.amdhsa_system_sgpr_workgroup_info 0
		.amdhsa_system_vgpr_workitem_id 0
		.amdhsa_next_free_vgpr 256
		.amdhsa_next_free_sgpr 46
		.amdhsa_reserve_vcc 1
		.amdhsa_float_round_mode_32 0
		.amdhsa_float_round_mode_16_64 0
		.amdhsa_float_denorm_mode_32 3
		.amdhsa_float_denorm_mode_16_64 3
		.amdhsa_dx10_clamp 1
		.amdhsa_ieee_mode 1
		.amdhsa_fp16_overflow 0
		.amdhsa_workgroup_processor_mode 1
		.amdhsa_memory_ordered 1
		.amdhsa_forward_progress 0
		.amdhsa_shared_vgpr_count 0
		.amdhsa_exception_fp_ieee_invalid_op 0
		.amdhsa_exception_fp_denorm_src 0
		.amdhsa_exception_fp_ieee_div_zero 0
		.amdhsa_exception_fp_ieee_overflow 0
		.amdhsa_exception_fp_ieee_underflow 0
		.amdhsa_exception_fp_ieee_inexact 0
		.amdhsa_exception_int_div_zero 0
	.end_amdhsa_kernel
	.text
.Lfunc_end0:
	.size	bluestein_single_back_len910_dim1_dp_op_CI_CI, .Lfunc_end0-bluestein_single_back_len910_dim1_dp_op_CI_CI
                                        ; -- End function
	.section	.AMDGPU.csdata,"",@progbits
; Kernel info:
; codeLenInByte = 22248
; NumSgprs: 48
; NumVgprs: 256
; ScratchSize: 208
; MemoryBound: 0
; FloatMode: 240
; IeeeMode: 1
; LDSByteSize: 29120 bytes/workgroup (compile time only)
; SGPRBlocks: 5
; VGPRBlocks: 31
; NumSGPRsForWavesPerEU: 48
; NumVGPRsForWavesPerEU: 256
; Occupancy: 5
; WaveLimiterHint : 1
; COMPUTE_PGM_RSRC2:SCRATCH_EN: 1
; COMPUTE_PGM_RSRC2:USER_SGPR: 15
; COMPUTE_PGM_RSRC2:TRAP_HANDLER: 0
; COMPUTE_PGM_RSRC2:TGID_X_EN: 1
; COMPUTE_PGM_RSRC2:TGID_Y_EN: 0
; COMPUTE_PGM_RSRC2:TGID_Z_EN: 0
; COMPUTE_PGM_RSRC2:TIDIG_COMP_CNT: 0
	.text
	.p2alignl 7, 3214868480
	.fill 96, 4, 3214868480
	.type	__hip_cuid_eda528691f4050a8,@object ; @__hip_cuid_eda528691f4050a8
	.section	.bss,"aw",@nobits
	.globl	__hip_cuid_eda528691f4050a8
__hip_cuid_eda528691f4050a8:
	.byte	0                               ; 0x0
	.size	__hip_cuid_eda528691f4050a8, 1

	.ident	"AMD clang version 19.0.0git (https://github.com/RadeonOpenCompute/llvm-project roc-6.4.0 25133 c7fe45cf4b819c5991fe208aaa96edf142730f1d)"
	.section	".note.GNU-stack","",@progbits
	.addrsig
	.addrsig_sym __hip_cuid_eda528691f4050a8
	.amdgpu_metadata
---
amdhsa.kernels:
  - .args:
      - .actual_access:  read_only
        .address_space:  global
        .offset:         0
        .size:           8
        .value_kind:     global_buffer
      - .actual_access:  read_only
        .address_space:  global
        .offset:         8
        .size:           8
        .value_kind:     global_buffer
      - .actual_access:  read_only
        .address_space:  global
        .offset:         16
        .size:           8
        .value_kind:     global_buffer
      - .actual_access:  read_only
        .address_space:  global
        .offset:         24
        .size:           8
        .value_kind:     global_buffer
      - .actual_access:  read_only
        .address_space:  global
        .offset:         32
        .size:           8
        .value_kind:     global_buffer
      - .offset:         40
        .size:           8
        .value_kind:     by_value
      - .address_space:  global
        .offset:         48
        .size:           8
        .value_kind:     global_buffer
      - .address_space:  global
        .offset:         56
        .size:           8
        .value_kind:     global_buffer
      - .address_space:  global
        .offset:         64
        .size:           8
        .value_kind:     global_buffer
      - .address_space:  global
        .offset:         72
        .size:           8
        .value_kind:     global_buffer
      - .offset:         80
        .size:           4
        .value_kind:     by_value
      - .address_space:  global
        .offset:         88
        .size:           8
        .value_kind:     global_buffer
      - .address_space:  global
        .offset:         96
        .size:           8
        .value_kind:     global_buffer
    .group_segment_fixed_size: 29120
    .kernarg_segment_align: 8
    .kernarg_segment_size: 104
    .language:       OpenCL C
    .language_version:
      - 2
      - 0
    .max_flat_workgroup_size: 182
    .name:           bluestein_single_back_len910_dim1_dp_op_CI_CI
    .private_segment_fixed_size: 208
    .sgpr_count:     48
    .sgpr_spill_count: 0
    .symbol:         bluestein_single_back_len910_dim1_dp_op_CI_CI.kd
    .uniform_work_group_size: 1
    .uses_dynamic_stack: false
    .vgpr_count:     256
    .vgpr_spill_count: 51
    .wavefront_size: 32
    .workgroup_processor_mode: 1
amdhsa.target:   amdgcn-amd-amdhsa--gfx1100
amdhsa.version:
  - 1
  - 2
...

	.end_amdgpu_metadata
